;; amdgpu-corpus repo=ROCm/rocFFT kind=compiled arch=gfx1201 opt=O3
	.text
	.amdgcn_target "amdgcn-amd-amdhsa--gfx1201"
	.amdhsa_code_object_version 6
	.protected	fft_rtc_back_len208_factors_13_16_wgs_144_tpt_16_dp_op_CI_CI_sbcc_twdbase8_2step ; -- Begin function fft_rtc_back_len208_factors_13_16_wgs_144_tpt_16_dp_op_CI_CI_sbcc_twdbase8_2step
	.globl	fft_rtc_back_len208_factors_13_16_wgs_144_tpt_16_dp_op_CI_CI_sbcc_twdbase8_2step
	.p2align	8
	.type	fft_rtc_back_len208_factors_13_16_wgs_144_tpt_16_dp_op_CI_CI_sbcc_twdbase8_2step,@function
fft_rtc_back_len208_factors_13_16_wgs_144_tpt_16_dp_op_CI_CI_sbcc_twdbase8_2step: ; @fft_rtc_back_len208_factors_13_16_wgs_144_tpt_16_dp_op_CI_CI_sbcc_twdbase8_2step
; %bb.0:
	s_clause 0x1
	s_load_b128 s[16:19], s[0:1], 0x18
	s_load_b64 s[28:29], s[0:1], 0x28
	s_mov_b32 s3, 0
	s_mov_b32 s4, 0x71c4fc00
	s_movk_i32 s5, 0x7c
	s_mov_b32 s2, s3
	s_mov_b64 s[22:23], 0
	s_add_nc_u64 s[4:5], s[2:3], s[4:5]
	s_delay_alu instid0(SALU_CYCLE_1) | instskip(NEXT) | instid1(SALU_CYCLE_1)
	s_add_co_i32 s5, s5, 0x1c71c6a0
	s_mul_u64 s[6:7], s[4:5], -9
	s_delay_alu instid0(SALU_CYCLE_1)
	s_mul_hi_u32 s9, s4, s7
	s_mul_i32 s8, s4, s7
	s_mul_hi_u32 s2, s4, s6
	s_mul_i32 s11, s5, s6
	s_add_nc_u64 s[8:9], s[2:3], s[8:9]
	s_mul_hi_u32 s10, s5, s6
	s_mul_hi_u32 s12, s5, s7
	s_wait_kmcnt 0x0
	s_load_b64 s[30:31], s[16:17], 0x8
	s_add_co_u32 s2, s8, s11
	s_add_co_ci_u32 s2, s9, s10
	s_mul_i32 s6, s5, s7
	s_add_co_ci_u32 s7, s12, 0
	s_delay_alu instid0(SALU_CYCLE_1) | instskip(NEXT) | instid1(SALU_CYCLE_1)
	s_add_nc_u64 s[6:7], s[2:3], s[6:7]
	v_add_co_u32 v1, s2, s4, s6
	s_delay_alu instid0(VALU_DEP_1) | instskip(SKIP_1) | instid1(VALU_DEP_1)
	s_cmp_lg_u32 s2, 0
	s_add_co_ci_u32 s8, s5, s7
	v_readfirstlane_b32 s9, v1
	s_wait_kmcnt 0x0
	s_add_nc_u64 s[4:5], s[30:31], -1
	s_wait_alu 0xfffe
	s_mul_hi_u32 s7, s4, s8
	s_mul_i32 s6, s4, s8
	s_mul_hi_u32 s2, s4, s9
	s_mul_hi_u32 s11, s5, s9
	s_mul_i32 s9, s5, s9
	s_wait_alu 0xfffe
	s_add_nc_u64 s[6:7], s[2:3], s[6:7]
	s_mul_hi_u32 s10, s5, s8
	s_wait_alu 0xfffe
	s_add_co_u32 s2, s6, s9
	s_add_co_ci_u32 s2, s7, s11
	s_mul_i32 s8, s5, s8
	s_add_co_ci_u32 s9, s10, 0
	s_delay_alu instid0(SALU_CYCLE_1) | instskip(SKIP_2) | instid1(SALU_CYCLE_1)
	s_add_nc_u64 s[6:7], s[2:3], s[8:9]
	s_wait_alu 0xfffe
	s_mul_u64 s[8:9], s[6:7], 9
	v_sub_co_u32 v1, s2, s4, s8
	s_delay_alu instid0(VALU_DEP_1) | instskip(SKIP_1) | instid1(VALU_DEP_1)
	s_cmp_lg_u32 s2, 0
	s_sub_co_ci_u32 s10, s5, s9
	v_sub_co_u32 v2, s4, v1, 9
	s_delay_alu instid0(VALU_DEP_1) | instskip(SKIP_2) | instid1(VALU_DEP_2)
	s_cmp_lg_u32 s4, 0
	v_readfirstlane_b32 s11, v1
	s_sub_co_ci_u32 s8, s10, 0
	v_readfirstlane_b32 s2, v2
	s_add_nc_u64 s[4:5], s[6:7], 1
	s_delay_alu instid0(VALU_DEP_1)
	s_cmp_gt_u32 s2, 8
	s_cselect_b32 s2, -1, 0
	s_wait_alu 0xfffe
	s_cmp_eq_u32 s8, 0
	s_add_nc_u64 s[8:9], s[6:7], 2
	s_cselect_b32 s2, s2, -1
	s_delay_alu instid0(SALU_CYCLE_1)
	s_cmp_lg_u32 s2, 0
	s_wait_alu 0xfffe
	s_cselect_b32 s2, s8, s4
	s_cselect_b32 s4, s9, s5
	s_cmp_gt_u32 s11, 8
	s_cselect_b32 s5, -1, 0
	s_cmp_eq_u32 s10, 0
	s_wait_alu 0xfffe
	s_cselect_b32 s5, s5, -1
	s_wait_alu 0xfffe
	s_cmp_lg_u32 s5, 0
	s_cselect_b32 s5, s4, s7
	s_cselect_b32 s4, s2, s6
	s_mov_b32 s2, ttmp9
	s_wait_alu 0xfffe
	s_add_nc_u64 s[36:37], s[4:5], 1
	s_delay_alu instid0(SALU_CYCLE_1) | instskip(NEXT) | instid1(VALU_DEP_1)
	v_cmp_lt_u64_e64 s4, s[2:3], s[36:37]
	s_and_b32 vcc_lo, exec_lo, s4
	s_cbranch_vccnz .LBB0_2
; %bb.1:
	v_cvt_f32_u32_e32 v1, s36
	s_sub_co_i32 s5, 0, s36
	s_mov_b32 s23, s3
	s_delay_alu instid0(VALU_DEP_1) | instskip(NEXT) | instid1(TRANS32_DEP_1)
	v_rcp_iflag_f32_e32 v1, v1
	v_mul_f32_e32 v1, 0x4f7ffffe, v1
	s_delay_alu instid0(VALU_DEP_1) | instskip(NEXT) | instid1(VALU_DEP_1)
	v_cvt_u32_f32_e32 v1, v1
	v_readfirstlane_b32 s4, v1
	s_wait_alu 0xfffe
	s_delay_alu instid0(VALU_DEP_1)
	s_mul_i32 s5, s5, s4
	s_wait_alu 0xfffe
	s_mul_hi_u32 s5, s4, s5
	s_wait_alu 0xfffe
	s_add_co_i32 s4, s4, s5
	s_wait_alu 0xfffe
	s_mul_hi_u32 s4, s2, s4
	s_wait_alu 0xfffe
	s_mul_i32 s5, s4, s36
	s_add_co_i32 s6, s4, 1
	s_wait_alu 0xfffe
	s_sub_co_i32 s5, s2, s5
	s_wait_alu 0xfffe
	s_sub_co_i32 s7, s5, s36
	s_cmp_ge_u32 s5, s36
	s_cselect_b32 s4, s6, s4
	s_wait_alu 0xfffe
	s_cselect_b32 s5, s7, s5
	s_add_co_i32 s6, s4, 1
	s_wait_alu 0xfffe
	s_cmp_ge_u32 s5, s36
	s_cselect_b32 s22, s6, s4
.LBB0_2:
	s_load_b128 s[8:11], s[0:1], 0x8
	s_load_b128 s[12:15], s[18:19], 0x0
	;; [unrolled: 1-line block ×3, first 2 shown]
	s_load_b64 s[24:25], s[0:1], 0x0
	s_mul_u64 s[20:21], s[22:23], s[36:37]
	s_delay_alu instid0(SALU_CYCLE_1) | instskip(NEXT) | instid1(SALU_CYCLE_1)
	s_sub_nc_u64 s[20:21], s[2:3], s[20:21]
	s_mul_u64 s[26:27], s[20:21], 9
	s_wait_kmcnt 0x0
	v_cmp_lt_u64_e64 s33, s[10:11], 3
	s_mul_u64 s[34:35], s[14:15], s[26:27]
	s_mul_u64 s[20:21], s[6:7], s[26:27]
	s_delay_alu instid0(VALU_DEP_1)
	s_and_b32 vcc_lo, exec_lo, s33
	s_cbranch_vccnz .LBB0_12
; %bb.3:
	s_add_nc_u64 s[38:39], s[28:29], 16
	s_add_nc_u64 s[40:41], s[18:19], 16
	;; [unrolled: 1-line block ×3, first 2 shown]
	s_mov_b64 s[42:43], 2
	s_mov_b32 s44, 0
.LBB0_4:                                ; =>This Inner Loop Header: Depth=1
	s_load_b64 s[46:47], s[16:17], 0x0
                                        ; implicit-def: $sgpr50_sgpr51
	s_wait_kmcnt 0x0
	s_or_b64 s[48:49], s[22:23], s[46:47]
	s_delay_alu instid0(SALU_CYCLE_1)
	s_mov_b32 s45, s49
	s_mov_b32 s49, -1
	s_cmp_lg_u64 s[44:45], 0
	s_cbranch_scc0 .LBB0_6
; %bb.5:                                ;   in Loop: Header=BB0_4 Depth=1
	s_cvt_f32_u32 s33, s46
	s_cvt_f32_u32 s45, s47
	s_sub_nc_u64 s[52:53], 0, s[46:47]
	s_mov_b32 s49, 0
	s_mov_b32 s57, s44
	s_wait_alu 0xfffe
	s_fmamk_f32 s33, s45, 0x4f800000, s33
	s_wait_alu 0xfffe
	s_delay_alu instid0(SALU_CYCLE_2) | instskip(NEXT) | instid1(TRANS32_DEP_1)
	v_s_rcp_f32 s33, s33
	s_mul_f32 s33, s33, 0x5f7ffffc
	s_wait_alu 0xfffe
	s_delay_alu instid0(SALU_CYCLE_2) | instskip(NEXT) | instid1(SALU_CYCLE_3)
	s_mul_f32 s45, s33, 0x2f800000
	s_trunc_f32 s45, s45
	s_delay_alu instid0(SALU_CYCLE_3) | instskip(SKIP_2) | instid1(SALU_CYCLE_1)
	s_fmamk_f32 s33, s45, 0xcf800000, s33
	s_cvt_u32_f32 s51, s45
	s_wait_alu 0xfffe
	s_cvt_u32_f32 s50, s33
	s_wait_alu 0xfffe
	s_delay_alu instid0(SALU_CYCLE_2)
	s_mul_u64 s[54:55], s[52:53], s[50:51]
	s_wait_alu 0xfffe
	s_mul_hi_u32 s59, s50, s55
	s_mul_i32 s58, s50, s55
	s_mul_hi_u32 s48, s50, s54
	s_mul_i32 s45, s51, s54
	s_add_nc_u64 s[58:59], s[48:49], s[58:59]
	s_mul_hi_u32 s33, s51, s54
	s_mul_hi_u32 s60, s51, s55
	s_add_co_u32 s45, s58, s45
	s_wait_alu 0xfffe
	s_add_co_ci_u32 s56, s59, s33
	s_mul_i32 s54, s51, s55
	s_add_co_ci_u32 s55, s60, 0
	s_wait_alu 0xfffe
	s_add_nc_u64 s[54:55], s[56:57], s[54:55]
	s_wait_alu 0xfffe
	v_add_co_u32 v1, s33, s50, s54
	s_delay_alu instid0(VALU_DEP_1) | instskip(SKIP_1) | instid1(VALU_DEP_1)
	s_cmp_lg_u32 s33, 0
	s_add_co_ci_u32 s51, s51, s55
	v_readfirstlane_b32 s50, v1
	s_mov_b32 s55, s44
	s_wait_alu 0xfffe
	s_delay_alu instid0(VALU_DEP_1)
	s_mul_u64 s[52:53], s[52:53], s[50:51]
	s_wait_alu 0xfffe
	s_mul_hi_u32 s57, s50, s53
	s_mul_i32 s56, s50, s53
	s_mul_hi_u32 s48, s50, s52
	s_mul_i32 s45, s51, s52
	s_add_nc_u64 s[56:57], s[48:49], s[56:57]
	s_mul_hi_u32 s33, s51, s52
	s_mul_hi_u32 s50, s51, s53
	s_add_co_u32 s45, s56, s45
	s_wait_alu 0xfffe
	s_add_co_ci_u32 s54, s57, s33
	s_mul_i32 s52, s51, s53
	s_add_co_ci_u32 s53, s50, 0
	s_wait_alu 0xfffe
	s_add_nc_u64 s[52:53], s[54:55], s[52:53]
	s_wait_alu 0xfffe
	v_add_co_u32 v1, s33, v1, s52
	s_delay_alu instid0(VALU_DEP_1) | instskip(SKIP_1) | instid1(VALU_DEP_1)
	s_cmp_lg_u32 s33, 0
	s_add_co_ci_u32 s33, s51, s53
	v_readfirstlane_b32 s45, v1
	s_wait_alu 0xfffe
	s_mul_hi_u32 s51, s22, s33
	s_mul_i32 s50, s22, s33
	s_mul_hi_u32 s53, s23, s33
	s_mul_i32 s52, s23, s33
	;; [unrolled: 2-line block ×3, first 2 shown]
	s_wait_alu 0xfffe
	s_add_nc_u64 s[50:51], s[48:49], s[50:51]
	s_mul_hi_u32 s45, s23, s45
	s_wait_alu 0xfffe
	s_add_co_u32 s33, s50, s33
	s_add_co_ci_u32 s54, s51, s45
	s_add_co_ci_u32 s53, s53, 0
	s_wait_alu 0xfffe
	s_add_nc_u64 s[50:51], s[54:55], s[52:53]
	s_wait_alu 0xfffe
	s_mul_u64 s[52:53], s[46:47], s[50:51]
	s_add_nc_u64 s[54:55], s[50:51], 1
	s_wait_alu 0xfffe
	v_sub_co_u32 v1, s33, s22, s52
	s_sub_co_i32 s45, s23, s53
	s_cmp_lg_u32 s33, 0
	s_add_nc_u64 s[56:57], s[50:51], 2
	s_delay_alu instid0(VALU_DEP_1) | instskip(SKIP_2) | instid1(VALU_DEP_1)
	v_sub_co_u32 v2, s48, v1, s46
	s_sub_co_ci_u32 s45, s45, s47
	s_cmp_lg_u32 s48, 0
	v_readfirstlane_b32 s48, v2
	s_sub_co_ci_u32 s45, s45, 0
	s_delay_alu instid0(SALU_CYCLE_1) | instskip(SKIP_1) | instid1(VALU_DEP_1)
	s_cmp_ge_u32 s45, s47
	s_cselect_b32 s52, -1, 0
	s_cmp_ge_u32 s48, s46
	s_cselect_b32 s48, -1, 0
	s_cmp_eq_u32 s45, s47
	s_wait_alu 0xfffe
	s_cselect_b32 s45, s48, s52
	s_delay_alu instid0(SALU_CYCLE_1)
	s_cmp_lg_u32 s45, 0
	s_cselect_b32 s45, s56, s54
	s_cselect_b32 s48, s57, s55
	s_cmp_lg_u32 s33, 0
	v_readfirstlane_b32 s33, v1
	s_sub_co_ci_u32 s52, s23, s53
	s_wait_alu 0xfffe
	s_cmp_ge_u32 s52, s47
	s_cselect_b32 s53, -1, 0
	s_cmp_ge_u32 s33, s46
	s_cselect_b32 s33, -1, 0
	s_cmp_eq_u32 s52, s47
	s_wait_alu 0xfffe
	s_cselect_b32 s33, s33, s53
	s_wait_alu 0xfffe
	s_cmp_lg_u32 s33, 0
	s_cselect_b32 s51, s48, s51
	s_cselect_b32 s50, s45, s50
.LBB0_6:                                ;   in Loop: Header=BB0_4 Depth=1
	s_and_not1_b32 vcc_lo, exec_lo, s49
	s_cbranch_vccnz .LBB0_8
; %bb.7:                                ;   in Loop: Header=BB0_4 Depth=1
	v_cvt_f32_u32_e32 v1, s46
	s_sub_co_i32 s45, 0, s46
	s_mov_b32 s51, s44
	s_delay_alu instid0(VALU_DEP_1) | instskip(NEXT) | instid1(TRANS32_DEP_1)
	v_rcp_iflag_f32_e32 v1, v1
	v_mul_f32_e32 v1, 0x4f7ffffe, v1
	s_delay_alu instid0(VALU_DEP_1) | instskip(NEXT) | instid1(VALU_DEP_1)
	v_cvt_u32_f32_e32 v1, v1
	v_readfirstlane_b32 s33, v1
	s_delay_alu instid0(VALU_DEP_1) | instskip(NEXT) | instid1(SALU_CYCLE_1)
	s_mul_i32 s45, s45, s33
	s_mul_hi_u32 s45, s33, s45
	s_delay_alu instid0(SALU_CYCLE_1)
	s_add_co_i32 s33, s33, s45
	s_wait_alu 0xfffe
	s_mul_hi_u32 s33, s22, s33
	s_wait_alu 0xfffe
	s_mul_i32 s45, s33, s46
	s_add_co_i32 s48, s33, 1
	s_sub_co_i32 s45, s22, s45
	s_delay_alu instid0(SALU_CYCLE_1)
	s_sub_co_i32 s49, s45, s46
	s_cmp_ge_u32 s45, s46
	s_cselect_b32 s33, s48, s33
	s_cselect_b32 s45, s49, s45
	s_wait_alu 0xfffe
	s_add_co_i32 s48, s33, 1
	s_cmp_ge_u32 s45, s46
	s_cselect_b32 s50, s48, s33
.LBB0_8:                                ;   in Loop: Header=BB0_4 Depth=1
	s_load_b64 s[48:49], s[40:41], 0x0
	s_load_b64 s[52:53], s[38:39], 0x0
	s_add_nc_u64 s[42:43], s[42:43], 1
	s_mul_u64 s[36:37], s[46:47], s[36:37]
	s_wait_alu 0xfffe
	v_cmp_ge_u64_e64 s33, s[42:43], s[10:11]
	s_mul_u64 s[46:47], s[50:51], s[46:47]
	s_add_nc_u64 s[38:39], s[38:39], 8
	s_wait_alu 0xfffe
	s_sub_nc_u64 s[22:23], s[22:23], s[46:47]
	s_add_nc_u64 s[40:41], s[40:41], 8
	s_add_nc_u64 s[16:17], s[16:17], 8
	s_and_b32 vcc_lo, exec_lo, s33
	s_wait_kmcnt 0x0
	s_wait_alu 0xfffe
	s_mul_u64 s[46:47], s[48:49], s[22:23]
	s_mul_u64 s[22:23], s[52:53], s[22:23]
	s_wait_alu 0xfffe
	s_add_nc_u64 s[34:35], s[46:47], s[34:35]
	s_add_nc_u64 s[20:21], s[22:23], s[20:21]
	s_cbranch_vccnz .LBB0_10
; %bb.9:                                ;   in Loop: Header=BB0_4 Depth=1
	s_mov_b64 s[22:23], s[50:51]
	s_branch .LBB0_4
.LBB0_10:
	v_cmp_lt_u64_e64 s3, s[2:3], s[36:37]
	s_mov_b64 s[22:23], 0
	s_delay_alu instid0(VALU_DEP_1)
	s_and_b32 vcc_lo, exec_lo, s3
	s_cbranch_vccnz .LBB0_12
; %bb.11:
	v_cvt_f32_u32_e32 v1, s36
	s_sub_co_i32 s16, 0, s36
	s_mov_b32 s23, 0
	s_delay_alu instid0(VALU_DEP_1) | instskip(NEXT) | instid1(TRANS32_DEP_1)
	v_rcp_iflag_f32_e32 v1, v1
	v_mul_f32_e32 v1, 0x4f7ffffe, v1
	s_delay_alu instid0(VALU_DEP_1) | instskip(NEXT) | instid1(VALU_DEP_1)
	v_cvt_u32_f32_e32 v1, v1
	v_readfirstlane_b32 s3, v1
	s_delay_alu instid0(VALU_DEP_1) | instskip(NEXT) | instid1(SALU_CYCLE_1)
	s_mul_i32 s16, s16, s3
	s_mul_hi_u32 s16, s3, s16
	s_delay_alu instid0(SALU_CYCLE_1) | instskip(SKIP_4) | instid1(SALU_CYCLE_1)
	s_add_co_i32 s3, s3, s16
	s_wait_alu 0xfffe
	s_mul_hi_u32 s3, s2, s3
	s_wait_alu 0xfffe
	s_mul_i32 s16, s3, s36
	s_sub_co_i32 s2, s2, s16
	s_add_co_i32 s16, s3, 1
	s_wait_alu 0xfffe
	s_sub_co_i32 s17, s2, s36
	s_cmp_ge_u32 s2, s36
	s_cselect_b32 s3, s16, s3
	s_cselect_b32 s2, s17, s2
	s_wait_alu 0xfffe
	s_add_co_i32 s16, s3, 1
	s_cmp_ge_u32 s2, s36
	s_cselect_b32 s22, s16, s3
.LBB0_12:
	v_mul_u32_u24_e32 v1, 0x1c72, v0
	s_lshl_b64 s[36:37], s[10:11], 3
	s_add_nc_u64 s[10:11], s[26:27], 9
	s_load_b128 s[0:3], s[0:1], 0x60
	v_cmp_le_u64_e64 s17, s[10:11], s[30:31]
	v_lshrrev_b32_e32 v209, 16, v1
	s_mov_b32 s16, 0
	s_delay_alu instid0(VALU_DEP_1)
	v_mul_lo_u16 v1, v209, 9
	v_or_b32_e32 v3, 0x60, v209
	v_add_nc_u32_e32 v210, 16, v209
	v_or_b32_e32 v211, 32, v209
	v_add_nc_u32_e32 v213, 48, v209
	v_sub_nc_u16 v1, v0, v1
	s_delay_alu instid0(VALU_DEP_1)
	v_and_b32_e32 v212, 0xffff, v1
	v_or_b32_e32 v1, 64, v209
	scratch_store_b32 off, v1, off offset:32 ; 4-byte Folded Spill
	v_add_nc_u32_e32 v1, 0x50, v209
	scratch_store_b32 off, v1, off offset:28 ; 4-byte Folded Spill
	v_add_co_u32 v1, s10, s26, v212
	s_wait_alu 0xf1ff
	v_add_co_ci_u32_e64 v2, null, s27, 0, s10
	s_add_nc_u64 s[10:11], s[28:29], s[36:37]
	s_delay_alu instid0(VALU_DEP_1)
	v_cmp_gt_u64_e32 vcc_lo, s[30:31], v[1:2]
	v_add_nc_u32_e32 v1, 0x90, v209
	scratch_store_b32 off, v3, off offset:24 ; 4-byte Folded Spill
	v_add_nc_u32_e32 v3, 0x70, v209
	scratch_store_b32 off, v1, off offset:12 ; 4-byte Folded Spill
	v_or_b32_e32 v1, 0xa0, v209
	scratch_store_b32 off, v3, off offset:20 ; 4-byte Folded Spill
	v_or_b32_e32 v3, 0x80, v209
	s_or_b32 s33, s17, vcc_lo
	scratch_store_b32 off, v1, off offset:4 ; 4-byte Folded Spill
	v_add_nc_u32_e32 v1, 0xb0, v209
	scratch_store_b32 off, v1, off offset:8 ; 4-byte Folded Spill
	v_or_b32_e32 v1, 0xc0, v209
	scratch_store_b32 off, v3, off offset:16 ; 4-byte Folded Spill
	v_mul_u32_u24_e32 v3, 0xd00, v212
	s_clause 0x1
	scratch_store_b32 off, v1, off
	scratch_store_b32 off, v3, off offset:36
	s_wait_alu 0xfffe
	s_and_saveexec_b32 s17, s33
	s_cbranch_execz .LBB0_14
; %bb.13:
	s_add_nc_u64 s[18:19], s[18:19], s[36:37]
	v_mad_co_u64_u32 v[1:2], null, s14, v212, 0
	s_load_b64 s[18:19], s[18:19], 0x0
	v_mad_co_u64_u32 v[3:4], null, s12, v209, 0
	v_mad_co_u64_u32 v[5:6], null, s12, v210, 0
	s_lshl_b64 s[28:29], s[34:35], 4
	v_or_b32_e32 v15, 64, v209
	v_or_b32_e32 v23, 0x60, v209
	;; [unrolled: 1-line block ×3, first 2 shown]
	v_mad_co_u64_u32 v[7:8], null, s15, v212, v[2:3]
	v_mad_co_u64_u32 v[8:9], null, s12, v211, 0
	;; [unrolled: 1-line block ×4, first 2 shown]
	s_delay_alu instid0(VALU_DEP_4)
	v_mov_b32_e32 v2, v7
	v_mad_co_u64_u32 v[17:18], null, s12, v15, 0
	v_mov_b32_e32 v7, v9
	s_wait_kmcnt 0x0
	s_mul_u64 s[14:15], s[18:19], s[22:23]
	v_lshlrev_b64_e32 v[1:2], 4, v[1:2]
	s_wait_alu 0xfffe
	s_lshl_b64 s[14:15], s[14:15], 4
	v_mov_b32_e32 v4, v10
	s_wait_alu 0xfffe
	s_add_nc_u64 s[0:1], s[0:1], s[14:15]
	v_mad_co_u64_u32 v[9:10], null, s13, v210, v[6:7]
	v_mad_co_u64_u32 v[13:14], null, s13, v211, v[7:8]
	v_mov_b32_e32 v7, v12
	s_add_nc_u64 s[0:1], s[0:1], s[28:29]
	v_mad_co_u64_u32 v[25:26], null, s12, v23, 0
	v_add_co_u32 v49, vcc_lo, s0, v1
	v_add_co_ci_u32_e32 v50, vcc_lo, s1, v2, vcc_lo
	v_lshlrev_b64_e32 v[1:2], 4, v[3:4]
	v_mad_co_u64_u32 v[3:4], null, s13, v213, v[7:8]
	v_dual_mov_b32 v6, v9 :: v_dual_mov_b32 v9, v13
	v_add_nc_u32_e32 v21, 0x50, v209
	s_delay_alu instid0(VALU_DEP_4) | instskip(NEXT) | instid1(VALU_DEP_3)
	v_add_co_u32 v1, vcc_lo, v49, v1
	v_lshlrev_b64_e32 v[4:5], 4, v[5:6]
	v_mov_b32_e32 v12, v3
	s_delay_alu instid0(VALU_DEP_4)
	v_mad_co_u64_u32 v[19:20], null, s12, v21, 0
	v_lshlrev_b64_e32 v[6:7], 4, v[8:9]
	s_wait_alu 0xfffd
	v_add_co_ci_u32_e32 v2, vcc_lo, v50, v2, vcc_lo
	v_add_co_u32 v8, vcc_lo, v49, v4
	s_wait_alu 0xfffd
	v_add_co_ci_u32_e32 v9, vcc_lo, v50, v5, vcc_lo
	v_add_co_u32 v10, vcc_lo, v49, v6
	v_dual_mov_b32 v5, v18 :: v_dual_mov_b32 v6, v20
	v_lshlrev_b64_e32 v[3:4], 4, v[11:12]
	s_wait_alu 0xfffd
	v_add_co_ci_u32_e32 v11, vcc_lo, v50, v7, vcc_lo
	v_mad_co_u64_u32 v[33:34], null, s12, v32, 0
	v_mad_co_u64_u32 v[15:16], null, s13, v15, v[5:6]
	v_add_nc_u32_e32 v29, 0x70, v209
	v_mad_co_u64_u32 v[20:21], null, s13, v21, v[6:7]
	v_add_co_u32 v13, vcc_lo, v49, v3
	s_wait_alu 0xfffd
	v_add_co_ci_u32_e32 v14, vcc_lo, v50, v4, vcc_lo
	v_mov_b32_e32 v18, v15
	v_mad_co_u64_u32 v[27:28], null, s12, v29, 0
	v_mov_b32_e32 v21, v26
	v_lshlrev_b64_e32 v[19:20], 4, v[19:20]
	s_delay_alu instid0(VALU_DEP_4)
	v_lshlrev_b64_e32 v[17:18], 4, v[17:18]
	s_clause 0x3
	global_load_b128 v[1:4], v[1:2], off
	global_load_b128 v[5:8], v[8:9], off
	;; [unrolled: 1-line block ×4, first 2 shown]
	v_add_nc_u32_e32 v46, 0xb0, v209
	v_dual_mov_b32 v22, v28 :: v_dual_mov_b32 v31, v34
	v_add_co_u32 v17, vcc_lo, v49, v17
	s_wait_alu 0xfffd
	v_add_co_ci_u32_e32 v18, vcc_lo, v50, v18, vcc_lo
	s_delay_alu instid0(VALU_DEP_3) | instskip(SKIP_4) | instid1(VALU_DEP_4)
	v_mad_co_u64_u32 v[23:24], null, s13, v23, v[21:22]
	v_add_nc_u32_e32 v41, 0x90, v209
	v_or_b32_e32 v45, 0xc0, v209
	v_mad_co_u64_u32 v[39:40], null, s12, v46, 0
	v_mul_u32_u24_e32 v54, 0xd00, v212
	v_mad_co_u64_u32 v[35:36], null, s12, v41, 0
	v_mad_co_u64_u32 v[21:22], null, s13, v29, v[22:23]
	v_add_co_u32 v29, vcc_lo, v49, v19
	v_mov_b32_e32 v26, v23
	s_wait_alu 0xfffd
	v_add_co_ci_u32_e32 v30, vcc_lo, v50, v20, vcc_lo
	s_delay_alu instid0(VALU_DEP_4)
	v_dual_mov_b32 v28, v21 :: v_dual_lshlrev_b32 v53, 4, v209
	s_clause 0x1
	global_load_b128 v[17:20], v[17:18], off
	global_load_b128 v[21:24], v[29:30], off
	v_mad_co_u64_u32 v[29:30], null, s13, v32, v[31:32]
	v_or_b32_e32 v32, 0xa0, v209
	v_lshlrev_b64_e32 v[25:26], 4, v[25:26]
	v_lshlrev_b64_e32 v[27:28], 4, v[27:28]
	v_add3_u32 v53, 0, v54, v53
	s_delay_alu instid0(VALU_DEP_4) | instskip(NEXT) | instid1(VALU_DEP_4)
	v_mad_co_u64_u32 v[37:38], null, s12, v32, 0
	v_add_co_u32 v25, vcc_lo, v49, v25
	s_wait_alu 0xfffd
	v_add_co_ci_u32_e32 v26, vcc_lo, v50, v26, vcc_lo
	v_add_co_u32 v30, vcc_lo, v49, v27
	s_wait_alu 0xfffd
	v_add_co_ci_u32_e32 v31, vcc_lo, v50, v28, vcc_lo
	v_dual_mov_b32 v34, v29 :: v_dual_mov_b32 v27, v36
	v_mov_b32_e32 v28, v38
	s_delay_alu instid0(VALU_DEP_2) | instskip(NEXT) | instid1(VALU_DEP_2)
	v_lshlrev_b64_e32 v[33:34], 4, v[33:34]
	v_mad_co_u64_u32 v[41:42], null, s13, v41, v[27:28]
	v_mad_co_u64_u32 v[42:43], null, s13, v32, v[28:29]
	v_mad_co_u64_u32 v[43:44], null, s12, v45, 0
	s_delay_alu instid0(VALU_DEP_4) | instskip(NEXT) | instid1(VALU_DEP_4)
	v_add_co_u32 v33, vcc_lo, v49, v33
	v_mov_b32_e32 v36, v41
	v_mad_co_u64_u32 v[40:41], null, s13, v46, v[40:41]
	s_delay_alu instid0(VALU_DEP_4) | instskip(NEXT) | instid1(VALU_DEP_3)
	v_dual_mov_b32 v38, v42 :: v_dual_mov_b32 v41, v44
	v_lshlrev_b64_e32 v[35:36], 4, v[35:36]
	s_wait_alu 0xfffd
	v_add_co_ci_u32_e32 v34, vcc_lo, v50, v34, vcc_lo
	s_delay_alu instid0(VALU_DEP_3) | instskip(SKIP_1) | instid1(VALU_DEP_4)
	v_lshlrev_b64_e32 v[37:38], 4, v[37:38]
	v_mad_co_u64_u32 v[41:42], null, s13, v45, v[41:42]
	v_add_co_u32 v45, vcc_lo, v49, v35
	s_wait_alu 0xfffd
	v_add_co_ci_u32_e32 v46, vcc_lo, v50, v36, vcc_lo
	v_lshlrev_b64_e32 v[35:36], 4, v[39:40]
	s_clause 0x1
	global_load_b128 v[25:28], v[25:26], off
	global_load_b128 v[29:32], v[30:31], off
	v_mov_b32_e32 v44, v41
	v_add_co_u32 v41, vcc_lo, v49, v37
	s_wait_alu 0xfffd
	v_add_co_ci_u32_e32 v42, vcc_lo, v50, v38, vcc_lo
	s_delay_alu instid0(VALU_DEP_3) | instskip(SKIP_3) | instid1(VALU_DEP_3)
	v_lshlrev_b64_e32 v[37:38], 4, v[43:44]
	v_add_co_u32 v47, vcc_lo, v49, v35
	s_wait_alu 0xfffd
	v_add_co_ci_u32_e32 v48, vcc_lo, v50, v36, vcc_lo
	v_add_co_u32 v49, vcc_lo, v49, v37
	s_wait_alu 0xfffd
	v_add_co_ci_u32_e32 v50, vcc_lo, v50, v38, vcc_lo
	s_clause 0x4
	global_load_b128 v[33:36], v[33:34], off
	global_load_b128 v[37:40], v[45:46], off
	global_load_b128 v[41:44], v[41:42], off
	global_load_b128 v[45:48], v[47:48], off
	global_load_b128 v[49:52], v[49:50], off
	s_wait_loadcnt 0xc
	ds_store_b128 v53, v[1:4]
	s_wait_loadcnt 0xb
	ds_store_b128 v53, v[5:8] offset:256
	s_wait_loadcnt 0xa
	ds_store_b128 v53, v[9:12] offset:512
	;; [unrolled: 2-line block ×12, first 2 shown]
.LBB0_14:
	s_or_b32 exec_lo, exec_lo, s17
	s_wait_kmcnt 0x0
	s_mov_b32 s0, 0x71c4fc00
	s_movk_i32 s1, 0x7c
	s_mov_b32 s17, s16
	s_mov_b32 s19, s16
	s_wait_alu 0xfffe
	s_add_nc_u64 s[0:1], s[16:17], s[0:1]
	v_lshrrev_b32_e32 v1, 4, v0
	s_wait_alu 0xfffe
	s_add_co_i32 s1, s1, 0x1c71c6a0
	s_mov_b32 s28, 0x4267c47c
	s_wait_alu 0xfffe
	s_mul_u64 s[12:13], s[0:1], -9
	s_mov_b32 s40, 0xebaa3ed8
	s_wait_alu 0xfffe
	s_mul_hi_u32 s15, s0, s13
	s_mul_i32 s14, s0, s13
	s_mul_hi_u32 s18, s0, s12
	s_mul_hi_u32 s17, s1, s12
	s_mul_i32 s12, s1, s12
	s_wait_alu 0xfffe
	s_add_nc_u64 s[14:15], s[18:19], s[14:15]
	s_mul_hi_u32 s18, s1, s13
	s_wait_alu 0xfffe
	s_add_co_u32 s12, s14, s12
	s_add_co_ci_u32 s12, s15, s17
	s_add_co_ci_u32 s15, s18, 0
	s_mul_i32 s14, s1, s13
	s_mov_b32 s13, s16
	s_mov_b32 s16, 0x1ea71119
	s_wait_alu 0xfffe
	s_add_nc_u64 s[12:13], s[12:13], s[14:15]
	s_mov_b32 s18, 0x66966769
	s_wait_alu 0xfffe
	v_add_co_u32 v3, s0, s0, s12
	s_delay_alu instid0(VALU_DEP_1) | instskip(SKIP_4) | instid1(VALU_DEP_2)
	s_cmp_lg_u32 s0, 0
	v_add_co_u32 v92, s0, s26, v1
	s_wait_alu 0xf1ff
	v_add_co_ci_u32_e64 v5, null, s27, 0, s0
	s_add_co_ci_u32 s0, s1, s13
	v_mul_hi_u32 v6, v92, v3
	s_wait_alu 0xfffe
	v_mad_co_u64_u32 v[1:2], null, v92, s0, 0
	v_mad_co_u64_u32 v[3:4], null, v5, v3, 0
	s_mov_b32 s12, 0xe00740e9
	s_mov_b32 s26, 0x42a4c3d2
	;; [unrolled: 1-line block ×4, first 2 shown]
	s_delay_alu instid0(VALU_DEP_2) | instskip(SKIP_3) | instid1(VALU_DEP_3)
	v_add_co_u32 v6, vcc_lo, v6, v1
	s_wait_alu 0xfffd
	v_add_co_ci_u32_e32 v7, vcc_lo, 0, v2, vcc_lo
	v_mad_co_u64_u32 v[1:2], null, v5, s0, 0
	v_add_co_u32 v3, vcc_lo, v6, v3
	s_wait_alu 0xfffd
	s_delay_alu instid0(VALU_DEP_3)
	v_add_co_ci_u32_e32 v3, vcc_lo, v7, v4, vcc_lo
	s_load_b64 s[0:1], s[10:11], 0x0
	global_wb scope:SCOPE_SE
	s_wait_storecnt_dscnt 0x0
	v_add_co_ci_u32_e32 v2, vcc_lo, 0, v2, vcc_lo
	v_add_co_u32 v1, vcc_lo, v3, v1
	s_wait_kmcnt 0x0
	s_barrier_signal -1
	s_wait_alu 0xfffd
	v_add_co_ci_u32_e32 v3, vcc_lo, 0, v2, vcc_lo
	v_mad_co_u64_u32 v[1:2], null, v1, 9, 0
	s_barrier_wait -1
	global_inv scope:SCOPE_SE
	s_mov_b32 s52, 0x4bc48dbf
	s_mov_b32 s42, 0xb2365da1
	;; [unrolled: 1-line block ×4, first 2 shown]
	v_mad_co_u64_u32 v[2:3], null, v3, 9, v[2:3]
	v_sub_co_u32 v1, vcc_lo, v92, v1
	s_mov_b32 s29, 0xbfddbe06
	s_mov_b32 s13, 0x3fec55a7
	s_mov_b32 s27, 0xbfea55e2
	s_mov_b32 s17, 0x3fe22d96
	s_wait_alu 0xfffd
	s_delay_alu instid0(VALU_DEP_2) | instskip(SKIP_3) | instid1(VALU_DEP_2)
	v_sub_co_ci_u32_e32 v2, vcc_lo, v5, v2, vcc_lo
	v_sub_co_u32 v3, vcc_lo, v1, 9
	s_mov_b32 s19, 0xbfefc445
	s_wait_alu 0xfffd
	v_subrev_co_ci_u32_e32 v4, vcc_lo, 0, v2, vcc_lo
	s_delay_alu instid0(VALU_DEP_2)
	v_cmp_lt_u32_e32 vcc_lo, 8, v3
	s_mov_b32 s41, 0x3fbedb7d
	s_mov_b32 s39, 0xbfedeba7
	;; [unrolled: 1-line block ×4, first 2 shown]
	s_wait_alu 0xfffd
	v_cndmask_b32_e64 v5, 0, -1, vcc_lo
	v_cmp_lt_u32_e32 vcc_lo, 8, v1
	s_mov_b32 s43, 0xbfd6b1d8
	s_mov_b32 s45, 0xbfe7f3cc
	;; [unrolled: 1-line block ×4, first 2 shown]
	s_wait_alu 0xfffd
	v_cndmask_b32_e64 v6, 0, -1, vcc_lo
	v_cmp_eq_u32_e32 vcc_lo, 0, v4
	s_mov_b32 s15, 0x3fea55e2
	s_mov_b32 s37, 0x3fefc445
	;; [unrolled: 1-line block ×4, first 2 shown]
	s_wait_alu 0xfffd
	v_dual_cndmask_b32 v4, -1, v5 :: v_dual_add_nc_u32 v5, -9, v3
	v_cmp_eq_u32_e32 vcc_lo, 0, v2
	v_and_b32_e32 v52, 15, v0
	s_mov_b32 s31, 0x3fcea1e5
	s_mov_b32 s10, s28
	;; [unrolled: 1-line block ×3, first 2 shown]
	s_wait_alu 0xfffd
	v_cndmask_b32_e32 v2, -1, v6, vcc_lo
	v_cmp_ne_u32_e32 vcc_lo, 0, v4
	s_mov_b32 s36, s18
	s_mov_b32 s46, s38
	s_mov_b32 s48, s34
	s_wait_alu 0xfffe
	s_mov_b32 s30, s52
	s_wait_alu 0xfffd
	v_cndmask_b32_e32 v3, v3, v5, vcc_lo
	v_cmp_ne_u32_e32 vcc_lo, 0, v2
	s_wait_alu 0xfffd
	s_delay_alu instid0(VALU_DEP_2) | instskip(SKIP_1) | instid1(VALU_DEP_2)
	v_cndmask_b32_e32 v1, v1, v3, vcc_lo
	v_cmp_gt_u32_e32 vcc_lo, 13, v52
	v_mul_u32_u24_e32 v1, 0xd0, v1
	s_delay_alu instid0(VALU_DEP_1) | instskip(SKIP_1) | instid1(VALU_DEP_2)
	v_lshlrev_b32_e32 v0, 4, v1
	v_lshlrev_b32_e32 v1, 4, v52
	v_add_nc_u32_e32 v53, 0, v0
	s_delay_alu instid0(VALU_DEP_2) | instskip(NEXT) | instid1(VALU_DEP_2)
	v_add3_u32 v215, 0, v1, v0
	v_add_nc_u32_e32 v214, v53, v1
	ds_load_b128 v[0:3], v214
	ds_load_b128 v[16:19], v215 offset:256
	ds_load_b128 v[36:39], v215 offset:512
	;; [unrolled: 1-line block ×3, first 2 shown]
	s_wait_dscnt 0x2
	v_add_f64_e32 v[6:7], v[2:3], v[18:19]
	v_add_f64_e32 v[4:5], v[0:1], v[16:17]
	s_wait_dscnt 0x1
	s_delay_alu instid0(VALU_DEP_2) | instskip(NEXT) | instid1(VALU_DEP_2)
	v_add_f64_e32 v[14:15], v[6:7], v[38:39]
	v_add_f64_e32 v[12:13], v[4:5], v[36:37]
	ds_load_b128 v[44:47], v215 offset:1024
	ds_load_b128 v[28:31], v215 offset:1280
	;; [unrolled: 1-line block ×8, first 2 shown]
	s_wait_dscnt 0x5
	v_add_f64_e32 v[64:65], v[30:31], v[6:7]
	v_add_f64_e64 v[78:79], v[30:31], -v[6:7]
	s_wait_dscnt 0x4
	v_add_f64_e64 v[66:67], v[38:39], -v[10:11]
	v_add_f64_e32 v[68:69], v[38:39], v[10:11]
	v_add_f64_e32 v[42:43], v[28:29], v[4:5]
	v_add_f64_e64 v[40:41], v[28:29], -v[4:5]
	s_wait_dscnt 0x3
	v_add_f64_e64 v[70:71], v[34:35], -v[22:23]
	v_add_f64_e32 v[72:73], v[34:35], v[22:23]
	;; [unrolled: 5-line block ×3, first 2 shown]
	v_add_f64_e32 v[50:51], v[56:57], v[60:61]
	v_add_f64_e64 v[80:81], v[56:57], -v[60:61]
	v_add_f64_e32 v[38:39], v[54:55], v[58:59]
	v_add_f64_e32 v[90:91], v[32:33], v[20:21]
	v_add_f64_e64 v[93:94], v[32:33], -v[20:21]
	v_add_f64_e32 v[84:85], v[44:45], v[24:25]
	v_add_f64_e32 v[62:63], v[14:15], v[34:35]
	;; [unrolled: 1-line block ×3, first 2 shown]
	ds_load_b128 v[12:15], v215 offset:3072
	v_add_f64_e64 v[34:35], v[54:55], -v[58:59]
	global_wb scope:SCOPE_SE
	s_wait_dscnt 0x0
	s_barrier_signal -1
	s_barrier_wait -1
	global_inv scope:SCOPE_SE
	v_mul_f64_e32 v[129:130], s[40:41], v[64:65]
	v_mul_f64_e32 v[127:128], s[36:37], v[78:79]
	;; [unrolled: 1-line block ×5, first 2 shown]
	v_add_f64_e64 v[95:96], v[18:19], -v[14:15]
	v_add_f64_e32 v[97:98], v[18:19], v[14:15]
	v_add_f64_e32 v[99:100], v[16:17], v[12:13]
	v_add_f64_e64 v[101:102], v[16:17], -v[12:13]
	v_mul_f64_e32 v[117:118], s[42:43], v[68:69]
	v_mul_f64_e32 v[131:132], s[52:53], v[66:67]
	;; [unrolled: 1-line block ×12, first 2 shown]
	v_add_f64_e32 v[62:63], v[62:63], v[46:47]
	v_add_f64_e32 v[82:83], v[48:49], v[44:45]
	v_mul_f64_e32 v[121:122], s[50:51], v[72:73]
	v_mul_f64_e32 v[135:136], s[46:47], v[70:71]
	;; [unrolled: 1-line block ×9, first 2 shown]
	v_add_f64_e64 v[46:47], v[44:45], -v[24:25]
	v_mul_f64_e32 v[111:112], s[38:39], v[74:75]
	v_mul_f64_e32 v[113:114], s[42:43], v[76:77]
	;; [unrolled: 1-line block ×6, first 2 shown]
	s_wait_alu 0xfffe
	v_mul_f64_e32 v[191:192], s[30:31], v[74:75]
	v_mul_f64_e32 v[48:49], s[34:35], v[78:79]
	;; [unrolled: 1-line block ×3, first 2 shown]
	v_fma_f64 v[199:200], v[86:87], s[42:43], v[115:116]
	v_mul_f64_e32 v[155:156], s[28:29], v[95:96]
	v_mul_f64_e32 v[157:158], s[12:13], v[97:98]
	;; [unrolled: 1-line block ×12, first 2 shown]
	v_fma_f64 v[216:217], v[88:89], s[46:47], v[117:118]
	v_fma_f64 v[250:251], v[86:87], s[44:45], v[147:148]
	;; [unrolled: 1-line block ×4, first 2 shown]
	v_add_f64_e32 v[30:31], v[62:63], v[30:31]
	v_add_f64_e32 v[28:29], v[82:83], v[28:29]
	v_fma_f64 v[207:208], v[88:89], s[18:19], v[177:178]
	v_mul_f64_e32 v[62:63], s[10:11], v[74:75]
	v_mul_f64_e32 v[82:83], s[12:13], v[76:77]
	;; [unrolled: 1-line block ×3, first 2 shown]
	v_fma_f64 v[193:194], v[90:91], s[40:41], -v[107:108]
	v_fma_f64 v[195:196], v[93:94], s[18:19], v[109:110]
	v_fma_f64 v[218:219], v[90:91], s[50:51], v[119:120]
	;; [unrolled: 1-line block ×5, first 2 shown]
	v_mul_f64_e32 v[139:140], s[26:27], v[78:79]
	v_mul_f64_e32 v[141:142], s[16:17], v[64:65]
	;; [unrolled: 1-line block ×4, first 2 shown]
	v_fma_f64 v[197:198], v[84:85], s[42:43], -v[111:112]
	v_fma_f64 v[222:223], v[84:85], s[44:45], v[123:124]
	v_fma_f64 v[203:204], v[84:85], s[40:41], v[159:160]
	v_mul_f64_e32 v[32:33], s[52:53], v[80:81]
	v_mul_f64_e32 v[16:17], s[50:51], v[50:51]
	;; [unrolled: 1-line block ×3, first 2 shown]
	v_fma_f64 v[224:225], v[99:100], s[12:13], v[155:156]
	v_fma_f64 v[226:227], v[101:102], s[10:11], v[157:158]
	v_fma_f64 v[155:156], v[99:100], s[12:13], -v[155:156]
	v_fma_f64 v[157:158], v[101:102], s[28:29], v[157:158]
	v_fma_f64 v[228:229], v[99:100], s[16:17], v[163:164]
	v_fma_f64 v[230:231], v[101:102], s[14:15], v[165:166]
	v_fma_f64 v[163:164], v[99:100], s[16:17], -v[163:164]
	v_fma_f64 v[165:166], v[101:102], s[26:27], v[165:166]
	v_fma_f64 v[232:233], v[99:100], s[40:41], v[171:172]
	v_fma_f64 v[234:235], v[101:102], s[36:37], v[173:174]
	v_fma_f64 v[171:172], v[99:100], s[40:41], -v[171:172]
	v_fma_f64 v[173:174], v[101:102], s[18:19], v[173:174]
	v_fma_f64 v[236:237], v[99:100], s[42:43], v[179:180]
	v_fma_f64 v[238:239], v[101:102], s[46:47], v[181:182]
	v_fma_f64 v[179:180], v[99:100], s[42:43], -v[179:180]
	v_fma_f64 v[181:182], v[101:102], s[38:39], v[181:182]
	v_add_f64_e32 v[30:31], v[30:31], v[56:57]
	v_add_f64_e32 v[28:29], v[28:29], v[54:55]
	v_fma_f64 v[240:241], v[99:100], s[44:45], v[187:188]
	v_fma_f64 v[242:243], v[101:102], s[48:49], v[189:190]
	v_fma_f64 v[187:188], v[99:100], s[44:45], -v[187:188]
	v_fma_f64 v[189:190], v[101:102], s[34:35], v[189:190]
	v_fma_f64 v[244:245], v[99:100], s[50:51], v[95:96]
	;; [unrolled: 1-line block ×3, first 2 shown]
	v_fma_f64 v[95:96], v[99:100], s[50:51], -v[95:96]
	v_fma_f64 v[97:98], v[101:102], s[52:53], v[97:98]
	v_fma_f64 v[54:55], v[86:87], s[16:17], -v[103:104]
	v_fma_f64 v[56:57], v[88:89], s[26:27], v[105:106]
	v_fma_f64 v[99:100], v[86:87], s[50:51], v[131:132]
	;; [unrolled: 1-line block ×4, first 2 shown]
	v_fma_f64 v[62:63], v[84:85], s[12:13], -v[62:63]
	v_mul_f64_e32 v[36:37], s[12:13], v[50:51]
	v_mul_f64_e32 v[143:144], s[34:35], v[80:81]
	;; [unrolled: 1-line block ×3, first 2 shown]
	v_add_f64_e32 v[224:225], v[0:1], v[224:225]
	v_add_f64_e32 v[226:227], v[2:3], v[226:227]
	;; [unrolled: 1-line block ×26, first 2 shown]
	v_fma_f64 v[58:59], v[90:91], s[42:43], v[135:136]
	v_fma_f64 v[60:61], v[93:94], s[38:39], v[137:138]
	;; [unrolled: 1-line block ×4, first 2 shown]
	v_add_f64_e32 v[54:55], v[54:55], v[155:156]
	v_add_f64_e32 v[56:57], v[56:57], v[157:158]
	v_mul_f64_e32 v[157:158], s[50:51], v[76:77]
	v_add_f64_e32 v[199:200], v[199:200], v[228:229]
	v_add_f64_e32 v[216:217], v[216:217], v[230:231]
	v_mul_f64_e32 v[76:77], s[16:17], v[76:77]
	;; [unrolled: 3-line block ×3, first 2 shown]
	v_mul_f64_e32 v[230:231], s[12:13], v[64:65]
	v_add_f64_e32 v[236:237], v[250:251], v[236:237]
	v_add_f64_e32 v[238:239], v[252:253], v[238:239]
	v_mul_f64_e32 v[78:79], s[38:39], v[78:79]
	v_mul_f64_e32 v[64:65], s[42:43], v[64:65]
	v_add_f64_e32 v[6:7], v[30:31], v[6:7]
	v_fma_f64 v[30:31], v[86:87], s[16:17], v[103:104]
	v_fma_f64 v[103:104], v[86:87], s[42:43], -v[115:116]
	v_fma_f64 v[115:116], v[86:87], s[50:51], -v[131:132]
	v_fma_f64 v[131:132], v[86:87], s[44:45], -v[147:148]
	v_fma_f64 v[147:148], v[86:87], s[40:41], -v[175:176]
	v_fma_f64 v[175:176], v[86:87], s[12:13], v[66:67]
	v_fma_f64 v[66:67], v[86:87], s[12:13], -v[66:67]
	v_fma_f64 v[86:87], v[88:89], s[14:15], v[105:106]
	v_fma_f64 v[105:106], v[88:89], s[38:39], v[117:118]
	;; [unrolled: 1-line block ×7, first 2 shown]
	v_add_f64_e32 v[4:5], v[28:29], v[4:5]
	v_fma_f64 v[88:89], v[90:91], s[40:41], v[107:108]
	v_fma_f64 v[107:108], v[90:91], s[50:51], -v[119:120]
	v_fma_f64 v[119:120], v[90:91], s[42:43], -v[135:136]
	;; [unrolled: 1-line block ×4, first 2 shown]
	v_fma_f64 v[183:184], v[90:91], s[44:45], v[70:71]
	v_fma_f64 v[70:71], v[90:91], s[44:45], -v[70:71]
	v_fma_f64 v[90:91], v[93:94], s[36:37], v[109:110]
	v_fma_f64 v[109:110], v[93:94], s[52:53], v[121:122]
	;; [unrolled: 1-line block ×7, first 2 shown]
	v_add_f64_e32 v[205:206], v[205:206], v[240:241]
	v_add_f64_e32 v[207:208], v[207:208], v[242:243]
	v_fma_f64 v[28:29], v[84:85], s[50:51], v[191:192]
	v_fma_f64 v[93:94], v[84:85], s[42:43], v[111:112]
	v_fma_f64 v[111:112], v[84:85], s[44:45], -v[123:124]
	v_fma_f64 v[123:124], v[84:85], s[40:41], -v[159:160]
	;; [unrolled: 1-line block ×3, first 2 shown]
	v_fma_f64 v[191:192], v[84:85], s[16:17], v[74:75]
	v_fma_f64 v[74:75], v[84:85], s[16:17], -v[74:75]
	v_add_f64_e32 v[30:31], v[30:31], v[224:225]
	v_add_f64_e32 v[103:104], v[103:104], v[163:164]
	;; [unrolled: 1-line block ×14, first 2 shown]
	v_fma_f64 v[250:251], v[46:47], s[38:39], v[113:114]
	v_fma_f64 v[163:164], v[46:47], s[34:35], v[125:126]
	;; [unrolled: 1-line block ×12, first 2 shown]
	v_add_f64_e32 v[54:55], v[193:194], v[54:55]
	v_add_f64_e32 v[56:57], v[195:196], v[56:57]
	v_add_f64_e32 v[199:200], v[218:219], v[199:200]
	v_add_f64_e32 v[216:217], v[220:221], v[216:217]
	v_add_f64_e32 v[58:59], v[58:59], v[99:100]
	v_add_f64_e32 v[60:61], v[60:61], v[101:102]
	v_add_f64_e32 v[236:237], v[254:255], v[236:237]
	v_add_f64_e32 v[201:202], v[201:202], v[238:239]
	v_add_f64_e32 v[95:96], v[95:96], v[205:206]
	v_add_f64_e32 v[97:98], v[97:98], v[207:208]
	v_add_f64_e32 v[4:5], v[4:5], v[24:25]
	v_add_f64_e32 v[6:7], v[6:7], v[26:27]
	v_add_f64_e32 v[30:31], v[88:89], v[30:31]
	v_add_f64_e32 v[88:89], v[107:108], v[103:104]
	v_mul_f64_e32 v[84:85], s[14:15], v[80:81]
	v_add_f64_e32 v[107:108], v[135:136], v[131:132]
	v_mul_f64_e32 v[155:156], s[16:17], v[50:51]
	v_mul_f64_e32 v[232:233], s[38:39], v[80:81]
	v_add_f64_e32 v[0:1], v[70:71], v[0:1]
	v_add_f64_e32 v[26:27], v[90:91], v[86:87]
	;; [unrolled: 1-line block ×11, first 2 shown]
	v_mul_f64_e32 v[234:235], s[42:43], v[50:51]
	v_mul_f64_e32 v[80:81], s[36:37], v[80:81]
	;; [unrolled: 1-line block ×3, first 2 shown]
	v_fma_f64 v[252:253], v[42:43], s[44:45], -v[48:49]
	v_fma_f64 v[240:241], v[40:41], s[34:35], v[18:19]
	v_fma_f64 v[165:166], v[42:43], s[40:41], v[127:128]
	;; [unrolled: 1-line block ×10, first 2 shown]
	v_fma_f64 v[127:128], v[42:43], s[40:41], -v[127:128]
	v_fma_f64 v[139:140], v[42:43], s[16:17], -v[139:140]
	;; [unrolled: 1-line block ×4, first 2 shown]
	v_fma_f64 v[90:91], v[42:43], s[42:43], v[78:79]
	v_fma_f64 v[42:43], v[42:43], s[42:43], -v[78:79]
	v_fma_f64 v[78:79], v[40:41], s[36:37], v[129:130]
	v_fma_f64 v[121:122], v[40:41], s[26:27], v[141:142]
	;; [unrolled: 1-line block ×7, first 2 shown]
	v_add_f64_e32 v[40:41], v[197:198], v[54:55]
	v_add_f64_e32 v[54:55], v[250:251], v[56:57]
	;; [unrolled: 1-line block ×26, first 2 shown]
	v_fma_f64 v[242:243], v[38:39], s[50:51], -v[32:33]
	v_fma_f64 v[224:225], v[34:35], s[52:53], v[16:17]
	v_fma_f64 v[179:180], v[38:39], s[12:13], v[44:45]
	;; [unrolled: 1-line block ×10, first 2 shown]
	v_fma_f64 v[20:21], v[38:39], s[12:13], -v[44:45]
	v_fma_f64 v[26:27], v[38:39], s[44:45], -v[143:144]
	;; [unrolled: 1-line block ×4, first 2 shown]
	v_fma_f64 v[82:83], v[38:39], s[40:41], v[80:81]
	v_fma_f64 v[38:39], v[38:39], s[40:41], -v[80:81]
	v_fma_f64 v[80:81], v[34:35], s[18:19], v[50:51]
	v_fma_f64 v[50:51], v[34:35], s[36:37], v[50:51]
	v_fma_f64 v[84:85], v[34:35], s[38:39], v[234:235]
	v_fma_f64 v[112:113], v[34:35], s[14:15], v[155:156]
	v_fma_f64 v[114:115], v[34:35], s[34:35], v[145:146]
	v_fma_f64 v[36:37], v[34:35], s[10:11], v[36:37]
	v_add_f64_e32 v[40:41], v[252:253], v[40:41]
	v_add_f64_e32 v[54:55], v[240:241], v[54:55]
	;; [unrolled: 1-line block ×25, first 2 shown]
	v_fma_f64 v[8:9], v[34:35], s[30:31], v[16:17]
	v_add_f64_e32 v[10:11], v[18:19], v[22:23]
                                        ; implicit-def: $vgpr186_vgpr187
                                        ; implicit-def: $vgpr190_vgpr191
	v_add_f64_e32 v[156:157], v[242:243], v[40:41]
	v_add_f64_e32 v[158:159], v[224:225], v[54:55]
	v_add_f64_e32 v[140:141], v[179:180], v[56:57]
	v_add_f64_e32 v[142:143], v[181:182], v[107:108]
	v_add_f64_e32 v[160:161], v[246:247], v[58:59]
	v_add_f64_e32 v[162:163], v[76:77], v[60:61]
	v_add_f64_e32 v[108:109], v[195:196], v[109:110]
	v_add_f64_e32 v[110:111], v[218:219], v[66:67]
	v_add_f64_e32 v[128:129], v[101:102], v[28:29]
	v_add_f64_e32 v[130:131], v[254:255], v[68:69]
	v_add_f64_e32 v[132:133], v[32:33], v[30:31]
	v_add_f64_e32 v[176:177], v[20:21], v[48:49]
	v_add_f64_e32 v[178:179], v[36:37], v[78:79]
	v_add_f64_e32 v[172:173], v[26:27], v[62:63]
	v_add_f64_e32 v[152:153], v[44:45], v[24:25]
	v_add_f64_e32 v[136:137], v[74:75], v[86:87]
	v_add_f64_e32 v[164:165], v[82:83], v[88:89]
	v_add_f64_e32 v[166:167], v[80:81], v[90:91]
	v_add_f64_e32 v[168:169], v[38:39], v[0:1]
	v_add_f64_e32 v[170:171], v[50:51], v[2:3]
	v_add_f64_e32 v[138:139], v[84:85], v[42:43]
	v_add_f64_e32 v[154:155], v[112:113], v[46:47]
	v_add_f64_e32 v[174:175], v[114:115], v[64:65]
	v_add_f64_e32 v[64:65], v[4:5], v[12:13]
	v_add_f64_e32 v[66:67], v[6:7], v[14:15]
	v_mad_u32_u24 v0, 0xd0, v52, v53
	v_add_f64_e32 v[134:135], v[8:9], v[10:11]
	ds_store_b128 v0, v[140:143] offset:32
	ds_store_b128 v0, v[160:163] offset:48
	;; [unrolled: 1-line block ×11, first 2 shown]
	ds_store_b128 v0, v[64:67]
	ds_store_b128 v0, v[132:135] offset:16
	global_wb scope:SCOPE_SE
	s_wait_dscnt 0x0
	s_barrier_signal -1
	s_barrier_wait -1
	global_inv scope:SCOPE_SE
                                        ; implicit-def: $vgpr182_vgpr183
	s_and_saveexec_b32 s10, vcc_lo
	s_cbranch_execz .LBB0_16
; %bb.15:
	ds_load_b128 v[64:67], v214
	ds_load_b128 v[132:135], v215 offset:208
	ds_load_b128 v[140:143], v215 offset:416
	;; [unrolled: 1-line block ×15, first 2 shown]
.LBB0_16:
	s_wait_alu 0xfffe
	s_or_b32 exec_lo, exec_lo, s10
	v_add_nc_u32_e32 v0, -13, v52
	s_delay_alu instid0(VALU_DEP_1) | instskip(NEXT) | instid1(VALU_DEP_1)
	v_cndmask_b32_e32 v192, v0, v52, vcc_lo
	v_add_nc_u32_e32 v24, 0x41, v192
	s_delay_alu instid0(VALU_DEP_1) | instskip(NEXT) | instid1(VALU_DEP_1)
	v_mul_lo_u32 v33, v92, v24
	v_and_b32_e32 v41, 0xff, v33
	v_add_nc_u32_e32 v79, 0x8f, v192
	v_add_nc_u32_e32 v1, 13, v192
	v_add_nc_u32_e32 v3, 39, v192
	v_add_nc_u32_e32 v4, 52, v192
	v_add_nc_u32_e32 v35, 0x4e, v192
	v_mul_lo_u32 v93, v92, v79
	v_add_nc_u32_e32 v43, 0x5b, v192
	v_add_nc_u32_e32 v51, 0x68, v192
	;; [unrolled: 1-line block ×7, first 2 shown]
	v_and_b32_e32 v95, 0xff, v93
	v_lshrrev_b32_e32 v93, 4, v93
	v_add_nc_u32_e32 v98, 0xc3, v192
	v_mul_lo_u32 v0, v92, v192
	v_mul_lo_u32 v1, v92, v1
	;; [unrolled: 1-line block ×3, first 2 shown]
	v_and_b32_e32 v97, 0xff0, v93
	v_add_nc_u32_e32 v93, 0xb6, v192
	v_mul_lo_u32 v25, v92, v4
	v_mul_lo_u32 v40, v92, v35
	;; [unrolled: 1-line block ×11, first 2 shown]
	v_and_b32_e32 v5, 0xff, v0
	v_and_b32_e32 v8, 0xff, v1
	;; [unrolled: 1-line block ×10, first 2 shown]
	v_lshrrev_b32_e32 v0, 4, v0
	v_lshrrev_b32_e32 v9, 4, v1
	;; [unrolled: 1-line block ×11, first 2 shown]
	v_and_b32_e32 v10, 0xff, v2
	v_and_b32_e32 v96, 0xff, v94
	;; [unrolled: 1-line block ×3, first 2 shown]
	v_lshrrev_b32_e32 v11, 4, v2
	v_lshrrev_b32_e32 v94, 4, v94
	;; [unrolled: 1-line block ×3, first 2 shown]
	v_and_b32_e32 v117, 0xff, v115
	v_lshrrev_b32_e32 v115, 4, v115
	v_lshlrev_b32_e32 v4, 4, v5
	v_lshlrev_b32_e32 v8, 4, v8
	;; [unrolled: 1-line block ×12, first 2 shown]
	v_and_b32_e32 v5, 0xff0, v0
	v_and_b32_e32 v14, 0xff0, v9
	;; [unrolled: 1-line block ×11, first 2 shown]
	v_lshlrev_b32_e32 v16, 4, v10
	v_lshlrev_b32_e32 v100, 4, v96
	;; [unrolled: 1-line block ×3, first 2 shown]
	v_and_b32_e32 v20, 0xff0, v11
	v_and_b32_e32 v104, 0xff0, v94
	;; [unrolled: 1-line block ×3, first 2 shown]
	v_lshlrev_b32_e32 v144, 4, v117
	v_and_b32_e32 v148, 0xff0, v115
	s_clause 0x1f
	global_load_b128 v[0:3], v4, s[8:9]
	global_load_b128 v[4:7], v5, s[8:9] offset:4096
	global_load_b128 v[8:11], v8, s[8:9]
	global_load_b128 v[12:15], v14, s[8:9] offset:4096
	;; [unrolled: 2-line block ×16, first 2 shown]
	global_wb scope:SCOPE_SE
	s_wait_loadcnt_dscnt 0x0
	s_barrier_signal -1
	s_barrier_wait -1
	global_inv scope:SCOPE_SE
	s_and_saveexec_b32 s26, vcc_lo
	s_cbranch_execz .LBB0_18
; %bb.17:
	v_mul_i32_i24_e32 v192, 15, v192
	v_mov_b32_e32 v193, 0
	s_mov_b32 s8, 0x667f3bcd
	s_mov_b32 s9, 0x3fe6a09e
	;; [unrolled: 1-line block ×3, first 2 shown]
	s_wait_alu 0xfffe
	s_mov_b32 s10, s8
	v_lshlrev_b64_e32 v[192:193], 4, v[192:193]
	s_mov_b32 s18, 0xcf328d46
	s_mov_b32 s19, 0x3fed906b
	;; [unrolled: 1-line block ×5, first 2 shown]
	v_add_co_u32 v196, vcc_lo, s24, v192
	s_wait_alu 0xfffd
	v_add_co_ci_u32_e32 v197, vcc_lo, s25, v193, vcc_lo
	s_wait_alu 0xfffe
	s_mov_b32 s14, s12
	s_mov_b32 s17, 0xbfed906b
	s_clause 0xb
	global_load_b128 v[192:195], v[196:197], off offset:32
	global_load_b128 v[216:219], v[196:197], off offset:160
	;; [unrolled: 1-line block ×8, first 2 shown]
	global_load_b128 v[244:247], v[196:197], off
	global_load_b128 v[248:251], v[196:197], off offset:128
	global_load_b128 v[252:255], v[196:197], off offset:224
	;; [unrolled: 1-line block ×3, first 2 shown]
	s_mov_b32 s16, s18
	s_wait_loadcnt 0xb
	v_mul_f64_e32 v[202:203], v[160:161], v[194:195]
	v_mul_f64_e32 v[194:195], v[162:163], v[194:195]
	s_wait_loadcnt 0xa
	v_mul_f64_e32 v[204:205], v[176:177], v[218:219]
	v_mul_f64_e32 v[206:207], v[178:179], v[218:219]
	s_delay_alu instid0(VALU_DEP_4) | instskip(NEXT) | instid1(VALU_DEP_4)
	v_fma_f64 v[202:203], v[162:163], v[192:193], -v[202:203]
	v_fma_f64 v[218:219], v[160:161], v[192:193], v[194:195]
	s_clause 0x1
	global_load_b128 v[160:163], v[196:197], off offset:64
	global_load_b128 v[192:195], v[196:197], off offset:192
	v_fma_f64 v[204:205], v[178:179], v[216:217], -v[204:205]
	v_fma_f64 v[206:207], v[176:177], v[216:217], v[206:207]
	global_load_b128 v[176:179], v[196:197], off offset:112
	s_wait_loadcnt 0xc
	v_mul_f64_e32 v[196:197], v[170:171], v[222:223]
	v_mul_f64_e32 v[216:217], v[168:169], v[222:223]
	s_wait_loadcnt 0xb
	v_mul_f64_e32 v[222:223], v[140:141], v[226:227]
	s_delay_alu instid0(VALU_DEP_3) | instskip(NEXT) | instid1(VALU_DEP_3)
	v_fma_f64 v[168:169], v[168:169], v[220:221], v[196:197]
	v_fma_f64 v[170:171], v[170:171], v[220:221], -v[216:217]
	v_mul_f64_e32 v[196:197], v[142:143], v[226:227]
	s_wait_loadcnt 0xa
	v_mul_f64_e32 v[216:217], v[172:173], v[230:231]
	v_mul_f64_e32 v[220:221], v[174:175], v[230:231]
	s_wait_loadcnt 0x9
	v_mul_f64_e32 v[226:227], v[166:167], v[234:235]
	v_fma_f64 v[142:143], v[142:143], v[224:225], -v[222:223]
	s_wait_loadcnt 0x6
	v_mul_f64_e32 v[222:223], v[132:133], v[246:247]
	s_wait_loadcnt 0x5
	v_mul_f64_e32 v[230:231], v[152:153], v[250:251]
	v_fma_f64 v[140:141], v[140:141], v[224:225], v[196:197]
	v_mul_f64_e32 v[196:197], v[164:165], v[234:235]
	v_mul_f64_e32 v[224:225], v[134:135], v[246:247]
	v_fma_f64 v[174:175], v[174:175], v[228:229], -v[216:217]
	v_mul_f64_e32 v[216:217], v[154:155], v[250:251]
	v_fma_f64 v[172:173], v[172:173], v[228:229], v[220:221]
	s_wait_loadcnt 0x4
	v_mul_f64_e32 v[220:221], v[188:189], v[254:255]
	s_wait_loadcnt 0x3
	v_mul_f64_e32 v[228:229], v[184:185], v[200:201]
	v_fma_f64 v[164:165], v[164:165], v[232:233], v[226:227]
	v_fma_f64 v[134:135], v[134:135], v[244:245], -v[222:223]
	v_mul_f64_e32 v[222:223], v[158:159], v[242:243]
	v_mul_f64_e32 v[200:201], v[186:187], v[200:201]
	v_fma_f64 v[154:155], v[154:155], v[248:249], -v[230:231]
	v_fma_f64 v[166:167], v[166:167], v[232:233], -v[196:197]
	v_mul_f64_e32 v[232:233], v[110:111], v[238:239]
	v_fma_f64 v[132:133], v[132:133], v[244:245], v[224:225]
	v_mul_f64_e32 v[224:225], v[108:109], v[238:239]
	v_mul_f64_e32 v[238:239], v[156:157], v[242:243]
	v_fma_f64 v[152:153], v[152:153], v[248:249], v[216:217]
	v_mul_f64_e32 v[216:217], v[190:191], v[254:255]
	v_fma_f64 v[190:191], v[190:191], v[252:253], -v[220:221]
	v_fma_f64 v[186:187], v[186:187], v[198:199], -v[228:229]
	v_fma_f64 v[156:157], v[156:157], v[240:241], v[222:223]
	v_add_f64_e64 v[174:175], v[142:143], -v[174:175]
	v_add_f64_e64 v[154:155], v[134:135], -v[154:155]
	;; [unrolled: 1-line block ×3, first 2 shown]
	v_mul_f64_e32 v[220:221], v[94:95], v[98:99]
	v_mul_f64_e32 v[98:99], v[92:93], v[98:99]
	;; [unrolled: 1-line block ×4, first 2 shown]
	v_fma_f64 v[108:109], v[108:109], v[236:237], v[232:233]
	v_fma_f64 v[110:111], v[110:111], v[236:237], -v[224:225]
	v_fma_f64 v[158:159], v[158:159], v[240:241], -v[238:239]
	v_add_f64_e64 v[152:153], v[132:133], -v[152:153]
	v_mul_f64_e32 v[224:225], v[86:87], v[90:91]
	v_mul_f64_e32 v[90:91], v[84:85], v[90:91]
	v_add_f64_e64 v[186:187], v[166:167], -v[186:187]
	v_mul_f64_e32 v[236:237], v[78:79], v[82:83]
	v_fma_f64 v[142:143], v[142:143], 2.0, -v[174:175]
	v_fma_f64 v[134:135], v[134:135], 2.0, -v[154:155]
	;; [unrolled: 1-line block ×3, first 2 shown]
	v_mul_f64_e32 v[82:83], v[76:77], v[82:83]
	v_mul_f64_e32 v[238:239], v[70:71], v[74:75]
	;; [unrolled: 1-line block ×5, first 2 shown]
	v_fma_f64 v[94:95], v[94:95], v[96:97], v[98:99]
	v_fma_f64 v[92:93], v[92:93], v[96:97], -v[220:221]
	v_fma_f64 v[26:27], v[26:27], v[28:29], v[242:243]
	v_add_f64_e64 v[156:157], v[108:109], -v[156:157]
	v_add_f64_e64 v[158:159], v[110:111], -v[158:159]
	v_fma_f64 v[132:133], v[132:133], 2.0, -v[152:153]
	v_fma_f64 v[84:85], v[84:85], v[88:89], -v[224:225]
	v_fma_f64 v[86:87], v[86:87], v[88:89], v[90:91]
	v_fma_f64 v[76:77], v[76:77], v[80:81], -v[236:237]
	v_fma_f64 v[78:79], v[78:79], v[80:81], v[82:83]
	;; [unrolled: 2-line block ×3, first 2 shown]
	v_fma_f64 v[58:59], v[58:59], v[60:61], v[240:241]
	v_fma_f64 v[56:57], v[56:57], v[60:61], -v[62:63]
	v_fma_f64 v[108:109], v[108:109], 2.0, -v[156:157]
	v_fma_f64 v[110:111], v[110:111], 2.0, -v[158:159]
	s_wait_loadcnt 0x2
	v_mul_f64_e32 v[234:235], v[130:131], v[162:163]
	s_wait_loadcnt 0x1
	v_mul_f64_e32 v[196:197], v[182:183], v[194:195]
	v_mul_f64_e32 v[162:163], v[128:129], v[162:163]
	;; [unrolled: 1-line block ×3, first 2 shown]
	s_wait_loadcnt 0x0
	v_mul_f64_e32 v[226:227], v[136:137], v[178:179]
	v_mul_f64_e32 v[178:179], v[138:139], v[178:179]
	v_fma_f64 v[128:129], v[128:129], v[160:161], v[234:235]
	v_fma_f64 v[180:181], v[180:181], v[192:193], v[196:197]
	v_fma_f64 v[130:131], v[130:131], v[160:161], -v[162:163]
	v_fma_f64 v[160:161], v[182:183], v[192:193], -v[194:195]
	;; [unrolled: 1-line block ×3, first 2 shown]
	v_fma_f64 v[136:137], v[136:137], v[176:177], v[178:179]
	v_fma_f64 v[162:163], v[184:185], v[198:199], v[200:201]
	;; [unrolled: 1-line block ×3, first 2 shown]
	v_add_f64_e64 v[182:183], v[218:219], -v[206:207]
	v_add_f64_e64 v[184:185], v[170:171], -v[190:191]
	v_add_f64_e32 v[194:195], v[172:173], v[186:187]
	v_mul_f64_e32 v[216:217], v[102:103], v[106:107]
	v_mul_f64_e32 v[106:107], v[100:101], v[106:107]
	v_add_f64_e64 v[178:179], v[128:129], -v[180:181]
	v_add_f64_e64 v[180:181], v[202:203], -v[204:205]
	v_add_f64_e64 v[160:161], v[130:131], -v[160:161]
	v_add_f64_e64 v[138:139], v[66:67], -v[138:139]
	v_add_f64_e64 v[136:137], v[64:65], -v[136:137]
	v_add_f64_e64 v[162:163], v[164:165], -v[162:163]
	v_add_f64_e64 v[176:177], v[168:169], -v[176:177]
	v_fma_f64 v[206:207], v[218:219], 2.0, -v[182:183]
	v_add_f64_e32 v[192:193], v[182:183], v[184:185]
	v_fma_f64 v[170:171], v[170:171], 2.0, -v[184:185]
	v_fma_f64 v[100:101], v[100:101], v[104:105], -v[216:217]
	v_fma_f64 v[102:103], v[102:103], v[104:105], v[106:107]
	v_add_f64_e64 v[188:189], v[154:155], -v[178:179]
	v_fma_f64 v[128:129], v[128:129], 2.0, -v[178:179]
	v_add_f64_e32 v[196:197], v[152:153], v[160:161]
	v_add_f64_e64 v[190:191], v[138:139], -v[156:157]
	v_add_f64_e32 v[198:199], v[136:137], v[158:159]
	v_add_f64_e64 v[200:201], v[174:175], -v[162:163]
	v_add_f64_e64 v[204:205], v[180:181], -v[176:177]
	v_fma_f64 v[168:169], v[168:169], 2.0, -v[176:177]
	v_fma_f64 v[66:67], v[66:67], 2.0, -v[138:139]
	v_fma_f64 v[158:159], v[166:167], 2.0, -v[186:187]
	v_fma_f64 v[166:167], v[202:203], 2.0, -v[180:181]
	v_fma_f64 v[64:65], v[64:65], 2.0, -v[136:137]
	v_fma_f64 v[156:157], v[164:165], 2.0, -v[162:163]
	v_fma_f64 v[130:131], v[130:131], 2.0, -v[160:161]
	v_fma_f64 v[160:161], v[182:183], 2.0, -v[192:193]
	v_fma_f64 v[162:163], v[172:173], 2.0, -v[194:195]
	v_fma_f64 v[154:155], v[154:155], 2.0, -v[188:189]
	v_add_f64_e64 v[128:129], v[132:133], -v[128:129]
	v_fma_f64 v[152:153], v[152:153], 2.0, -v[196:197]
	v_fma_f64 v[138:139], v[138:139], 2.0, -v[190:191]
	;; [unrolled: 1-line block ×5, first 2 shown]
	v_fma_f64 v[174:175], v[204:205], s[8:9], v[188:189]
	v_fma_f64 v[176:177], v[200:201], s[8:9], v[190:191]
	;; [unrolled: 1-line block ×3, first 2 shown]
	v_add_f64_e64 v[110:111], v[66:67], -v[110:111]
	v_add_f64_e64 v[158:159], v[142:143], -v[158:159]
	;; [unrolled: 1-line block ×7, first 2 shown]
	v_fma_f64 v[178:179], v[192:193], s[8:9], v[196:197]
	v_fma_f64 v[132:133], v[132:133], 2.0, -v[128:129]
	v_fma_f64 v[182:183], v[160:161], s[10:11], v[152:153]
	v_fma_f64 v[184:185], v[162:163], s[10:11], v[136:137]
	;; [unrolled: 1-line block ×7, first 2 shown]
	v_fma_f64 v[66:67], v[66:67], 2.0, -v[110:111]
	v_fma_f64 v[142:143], v[142:143], 2.0, -v[158:159]
	;; [unrolled: 1-line block ×3, first 2 shown]
	v_add_f64_e32 v[194:195], v[128:129], v[170:171]
	v_add_f64_e32 v[158:159], v[108:109], v[158:159]
	v_add_f64_e64 v[200:201], v[110:111], -v[156:157]
	v_add_f64_e64 v[168:169], v[130:131], -v[168:169]
	v_fma_f64 v[178:179], v[204:205], s[8:9], v[178:179]
	v_fma_f64 v[134:135], v[134:135], 2.0, -v[130:131]
	v_fma_f64 v[64:65], v[64:65], 2.0, -v[108:109]
	;; [unrolled: 1-line block ×4, first 2 shown]
	v_fma_f64 v[166:167], v[172:173], s[8:9], v[182:183]
	v_fma_f64 v[164:165], v[164:165], s[8:9], v[184:185]
	;; [unrolled: 1-line block ×4, first 2 shown]
	v_fma_f64 v[172:173], v[188:189], 2.0, -v[174:175]
	v_fma_f64 v[170:171], v[190:191], 2.0, -v[176:177]
	;; [unrolled: 1-line block ×3, first 2 shown]
	v_mul_f64_e32 v[188:189], v[146:147], v[150:151]
	v_add_f64_e64 v[142:143], v[66:67], -v[142:143]
	v_add_f64_e64 v[186:187], v[132:133], -v[192:193]
	v_fma_f64 v[128:129], v[128:129], 2.0, -v[194:195]
	v_fma_f64 v[108:109], v[108:109], 2.0, -v[158:159]
	;; [unrolled: 1-line block ×5, first 2 shown]
	v_mul_f64_e32 v[150:151], v[144:145], v[150:151]
	v_fma_f64 v[202:203], v[168:169], s[8:9], v[200:201]
	v_add_f64_e64 v[140:141], v[64:65], -v[140:141]
	v_add_f64_e64 v[156:157], v[134:135], -v[156:157]
	v_fma_f64 v[204:205], v[194:195], s[8:9], v[158:159]
	v_fma_f64 v[196:197], v[174:175], s[18:19], v[176:177]
	;; [unrolled: 1-line block ×3, first 2 shown]
	v_mul_f64_e32 v[192:193], v[114:115], v[118:119]
	v_mul_f64_e32 v[118:119], v[112:113], v[118:119]
	;; [unrolled: 1-line block ×4, first 2 shown]
	v_fma_f64 v[152:153], v[152:153], 2.0, -v[166:167]
	v_fma_f64 v[136:137], v[136:137], 2.0, -v[164:165]
	;; [unrolled: 1-line block ×4, first 2 shown]
	s_wait_alu 0xfffe
	v_fma_f64 v[206:207], v[160:161], s[14:15], v[162:163]
	v_fma_f64 v[230:231], v[172:173], s[12:13], v[170:171]
	;; [unrolled: 1-line block ×3, first 2 shown]
	v_fma_f64 v[144:145], v[144:145], v[148:149], -v[188:189]
	v_fma_f64 v[66:67], v[66:67], 2.0, -v[142:143]
	v_fma_f64 v[132:133], v[132:133], 2.0, -v[186:187]
	v_mul_f64_e32 v[188:189], v[32:33], v[38:39]
	v_fma_f64 v[226:227], v[128:129], s[10:11], v[108:109]
	v_add_f64_e64 v[186:187], v[142:143], -v[186:187]
	v_fma_f64 v[228:229], v[130:131], s[10:11], v[110:111]
	v_fma_f64 v[222:223], v[182:183], s[12:13], v[184:185]
	;; [unrolled: 1-line block ×3, first 2 shown]
	v_mul_f64_e32 v[148:149], v[48:49], v[54:55]
	v_fma_f64 v[64:65], v[64:65], 2.0, -v[140:141]
	v_fma_f64 v[134:135], v[134:135], 2.0, -v[156:157]
	v_fma_f64 v[194:195], v[194:195], s[10:11], v[202:203]
	v_fma_f64 v[168:169], v[168:169], s[8:9], v[204:205]
	;; [unrolled: 1-line block ×4, first 2 shown]
	v_mul_f64_e32 v[196:197], v[16:17], v[22:23]
	v_add_f64_e32 v[156:157], v[140:141], v[156:157]
	v_mul_f64_e32 v[150:151], v[40:41], v[46:47]
	v_mul_f64_e32 v[202:203], v[0:1], v[6:7]
	;; [unrolled: 1-line block ×8, first 2 shown]
	v_fma_f64 v[114:115], v[114:115], v[116:117], v[118:119]
	v_mul_f64_e32 v[6:7], v[2:3], v[6:7]
	v_fma_f64 v[112:113], v[112:113], v[116:117], -v[192:193]
	v_fma_f64 v[122:123], v[122:123], v[124:125], v[126:127]
	v_fma_f64 v[120:121], v[120:121], v[124:125], -v[190:191]
	v_fma_f64 v[232:233], v[152:153], s[16:17], v[136:137]
	v_fma_f64 v[234:235], v[154:155], s[16:17], v[138:139]
	;; [unrolled: 1-line block ×7, first 2 shown]
	v_fma_f64 v[90:91], v[142:143], 2.0, -v[186:187]
	v_fma_f64 v[128:129], v[128:129], s[10:11], v[228:229]
	v_fma_f64 v[172:173], v[172:173], s[18:19], v[222:223]
	;; [unrolled: 1-line block ×3, first 2 shown]
	v_add_f64_e64 v[132:133], v[64:65], -v[132:133]
	v_add_f64_e64 v[134:135], v[66:67], -v[134:135]
	v_fma_f64 v[82:83], v[200:201], 2.0, -v[194:195]
	v_fma_f64 v[80:81], v[158:159], 2.0, -v[168:169]
	;; [unrolled: 1-line block ×4, first 2 shown]
	v_fma_f64 v[18:19], v[18:19], v[20:21], v[196:197]
	v_fma_f64 v[88:89], v[140:141], 2.0, -v[156:157]
	v_fma_f64 v[42:43], v[42:43], v[44:45], v[150:151]
	v_fma_f64 v[2:3], v[2:3], v[4:5], v[202:203]
	;; [unrolled: 1-line block ×3, first 2 shown]
	v_fma_f64 v[48:49], v[48:49], v[52:53], -v[54:55]
	v_fma_f64 v[52:53], v[40:41], v[44:45], -v[46:47]
	;; [unrolled: 1-line block ×6, first 2 shown]
	v_mul_f64_e32 v[8:9], v[156:157], v[102:103]
	v_mul_f64_e32 v[12:13], v[186:187], v[102:103]
	v_fma_f64 v[0:1], v[0:1], v[4:5], -v[6:7]
	v_mul_f64_e32 v[4:5], v[174:175], v[146:147]
	v_mul_f64_e32 v[6:7], v[168:169], v[122:123]
	v_fma_f64 v[154:155], v[154:155], s[14:15], v[232:233]
	v_mul_f64_e32 v[122:123], v[194:195], v[122:123]
	v_fma_f64 v[152:153], v[152:153], s[12:13], v[234:235]
	v_mul_f64_e32 v[16:17], v[166:167], v[114:115]
	v_fma_f64 v[106:107], v[170:171], 2.0, -v[182:183]
	v_mul_f64_e32 v[22:23], v[182:183], v[94:95]
	v_mul_f64_e32 v[14:15], v[160:161], v[114:115]
	;; [unrolled: 1-line block ×3, first 2 shown]
	v_fma_f64 v[98:99], v[108:109], 2.0, -v[130:131]
	v_fma_f64 v[108:109], v[164:165], 2.0, -v[160:161]
	;; [unrolled: 1-line block ×5, first 2 shown]
	v_mul_f64_e32 v[24:25], v[130:131], v[86:87]
	v_fma_f64 v[64:65], v[64:65], 2.0, -v[132:133]
	v_fma_f64 v[66:67], v[66:67], 2.0, -v[134:135]
	v_mul_f64_e32 v[32:33], v[134:135], v[70:71]
	v_mul_f64_e32 v[46:47], v[80:81], v[50:51]
	;; [unrolled: 1-line block ×10, first 2 shown]
	v_fma_f64 v[6:7], v[194:195], v[120:121], -v[6:7]
	v_fma_f64 v[116:117], v[136:137], 2.0, -v[154:155]
	v_mul_f64_e32 v[70:71], v[154:155], v[78:79]
	v_fma_f64 v[118:119], v[138:139], 2.0, -v[152:153]
	v_mul_f64_e32 v[78:79], v[152:153], v[78:79]
	v_mul_f64_e32 v[114:115], v[106:107], v[26:27]
	v_fma_f64 v[14:15], v[166:167], v[112:113], -v[14:15]
	v_mul_f64_e32 v[94:95], v[98:99], v[18:19]
	v_mul_f64_e32 v[124:125], v[108:109], v[42:43]
	;; [unrolled: 1-line block ×7, first 2 shown]
	v_fma_f64 v[2:3], v[178:179], v[144:145], -v[4:5]
	v_fma_f64 v[34:35], v[82:83], v[48:49], -v[46:47]
	v_fma_f64 v[4:5], v[168:169], v[120:121], v[122:123]
	v_fma_f64 v[18:19], v[182:183], v[92:93], -v[20:21]
	v_fma_f64 v[20:21], v[130:131], v[84:85], v[28:29]
	v_fma_f64 v[26:27], v[134:135], v[68:69], -v[30:31]
	v_fma_f64 v[30:31], v[74:75], v[56:57], -v[38:39]
	v_fma_f64 v[28:29], v[72:73], v[56:57], v[40:41]
	v_fma_f64 v[38:39], v[90:91], v[36:37], -v[58:59]
	v_fma_f64 v[36:37], v[88:89], v[36:37], v[62:63]
	v_mul_f64_e32 v[140:141], v[10:11], v[116:117]
	v_fma_f64 v[42:43], v[152:153], v[76:77], -v[70:71]
	v_mul_f64_e32 v[142:143], v[10:11], v[118:119]
	v_fma_f64 v[10:11], v[186:187], v[100:101], -v[8:9]
	v_fma_f64 v[8:9], v[156:157], v[100:101], v[12:13]
	v_fma_f64 v[12:13], v[160:161], v[112:113], v[16:17]
	;; [unrolled: 1-line block ×3, first 2 shown]
	v_fma_f64 v[22:23], v[128:129], v[84:85], -v[24:25]
	v_fma_f64 v[24:25], v[132:133], v[68:69], v[32:33]
	v_fma_f64 v[32:33], v[80:81], v[48:49], v[50:51]
	v_fma_f64 v[50:51], v[104:105], v[54:55], -v[94:95]
	v_fma_f64 v[40:41], v[154:155], v[76:77], v[78:79]
	v_fma_f64 v[48:49], v[98:99], v[54:55], v[102:103]
	v_fma_f64 v[46:47], v[106:107], v[44:45], -v[86:87]
	v_fma_f64 v[44:45], v[96:97], v[44:45], v[114:115]
	v_fma_f64 v[54:55], v[110:111], v[52:53], -v[124:125]
	;; [unrolled: 2-line block ×3, first 2 shown]
	v_fma_f64 v[56:57], v[0:1], v[64:65], v[138:139]
	v_fma_f64 v[0:1], v[174:175], v[144:145], v[146:147]
	v_fma_f64 v[62:63], v[60:61], v[118:119], -v[140:141]
	v_fma_f64 v[60:61], v[60:61], v[116:117], v[142:143]
	ds_store_b128 v215, v[32:35] offset:1248
	ds_store_b128 v215, v[28:31] offset:1456
	;; [unrolled: 1-line block ×12, first 2 shown]
	ds_store_b128 v214, v[56:59]
	ds_store_b128 v215, v[60:63] offset:208
	ds_store_b128 v215, v[4:7] offset:2912
	;; [unrolled: 1-line block ×3, first 2 shown]
.LBB0_18:
	s_wait_alu 0xfffe
	s_or_b32 exec_lo, exec_lo, s26
	global_wb scope:SCOPE_SE
	s_wait_dscnt 0x0
	s_barrier_signal -1
	s_barrier_wait -1
	global_inv scope:SCOPE_SE
	s_and_saveexec_b32 s8, s33
	s_cbranch_execz .LBB0_20
; %bb.19:
	v_mad_co_u64_u32 v[0:1], null, s6, v212, 0
	v_mad_co_u64_u32 v[2:3], null, s4, v209, 0
	;; [unrolled: 1-line block ×3, first 2 shown]
	s_mul_u64 s[0:1], s[0:1], s[22:23]
	v_mad_co_u64_u32 v[10:11], null, s4, v211, 0
	s_wait_alu 0xfffe
	s_lshl_b64 s[0:1], s[0:1], 4
	s_delay_alu instid0(VALU_DEP_3)
	v_mad_co_u64_u32 v[4:5], null, s7, v212, v[1:2]
	scratch_load_b32 v5, off, off offset:36 th:TH_LOAD_LU ; 4-byte Folded Reload
	v_mov_b32_e32 v1, v3
	v_lshlrev_b32_e32 v3, 4, v209
	s_lshl_b64 s[6:7], s[20:21], 4
	s_wait_alu 0xfffe
	s_add_nc_u64 s[0:1], s[2:3], s[0:1]
	v_mad_co_u64_u32 v[14:15], null, s4, v213, 0
	s_wait_alu 0xfffe
	s_add_nc_u64 s[0:1], s[0:1], s[6:7]
	s_wait_loadcnt 0x0
	v_add3_u32 v25, 0, v5, v3
	v_mad_co_u64_u32 v[5:6], null, s5, v209, v[1:2]
	v_mov_b32_e32 v3, v9
	v_mov_b32_e32 v1, v4
	s_delay_alu instid0(VALU_DEP_2) | instskip(NEXT) | instid1(VALU_DEP_2)
	v_mad_co_u64_u32 v[6:7], null, s5, v210, v[3:4]
	v_lshlrev_b64_e32 v[0:1], 4, v[0:1]
	v_mov_b32_e32 v3, v5
	s_delay_alu instid0(VALU_DEP_1) | instskip(SKIP_1) | instid1(VALU_DEP_3)
	v_lshlrev_b64_e32 v[12:13], 4, v[2:3]
	s_wait_alu 0xfffe
	v_add_co_u32 v26, vcc_lo, s0, v0
	s_wait_alu 0xfffd
	v_add_co_ci_u32_e32 v27, vcc_lo, s1, v1, vcc_lo
	v_mov_b32_e32 v9, v6
	ds_load_b128 v[0:3], v25
	ds_load_b128 v[4:7], v25 offset:256
	v_add_co_u32 v12, vcc_lo, v26, v12
	s_wait_alu 0xfffd
	v_add_co_ci_u32_e32 v13, vcc_lo, v27, v13, vcc_lo
	v_lshlrev_b64_e32 v[8:9], 4, v[8:9]
	s_delay_alu instid0(VALU_DEP_3) | instskip(SKIP_1) | instid1(VALU_DEP_3)
	v_mad_co_u64_u32 v[16:17], null, s5, v211, v[11:12]
	v_mov_b32_e32 v11, v15
	v_add_co_u32 v8, vcc_lo, v26, v8
	s_delay_alu instid0(VALU_DEP_2) | instskip(NEXT) | instid1(VALU_DEP_4)
	v_mad_co_u64_u32 v[17:18], null, s5, v213, v[11:12]
	v_mov_b32_e32 v11, v16
	scratch_load_b32 v16, off, off offset:32 th:TH_LOAD_LU ; 4-byte Folded Reload
	s_wait_alu 0xfffd
	v_add_co_ci_u32_e32 v9, vcc_lo, v27, v9, vcc_lo
	s_wait_dscnt 0x1
	global_store_b128 v[12:13], v[0:3], off
	s_wait_dscnt 0x0
	global_store_b128 v[8:9], v[4:7], off
	ds_load_b128 v[0:3], v25 offset:512
	ds_load_b128 v[4:7], v25 offset:768
	s_clause 0x1
	scratch_load_b32 v20, off, off offset:28 th:TH_LOAD_LU
	scratch_load_b32 v23, off, off offset:24 th:TH_LOAD_LU
	v_mov_b32_e32 v15, v17
	v_lshlrev_b64_e32 v[8:9], 4, v[10:11]
	s_delay_alu instid0(VALU_DEP_2) | instskip(SKIP_4) | instid1(VALU_DEP_2)
	v_lshlrev_b64_e32 v[14:15], 4, v[14:15]
	s_wait_loadcnt 0x2
	v_mad_co_u64_u32 v[18:19], null, s4, v16, 0
	s_wait_loadcnt 0x1
	v_mad_co_u64_u32 v[12:13], null, s4, v20, 0
	v_mov_b32_e32 v10, v19
	s_delay_alu instid0(VALU_DEP_1)
	v_mad_co_u64_u32 v[10:11], null, s5, v16, v[10:11]
	v_add_co_u32 v16, vcc_lo, v26, v8
	s_wait_alu 0xfffd
	v_add_co_ci_u32_e32 v17, vcc_lo, v27, v9, vcc_lo
	v_mov_b32_e32 v8, v13
	v_add_co_u32 v13, vcc_lo, v26, v14
	s_wait_alu 0xfffd
	v_add_co_ci_u32_e32 v14, vcc_lo, v27, v15, vcc_lo
	v_mov_b32_e32 v19, v10
	v_mad_co_u64_u32 v[20:21], null, s5, v20, v[8:9]
	ds_load_b128 v[8:11], v25 offset:1024
	s_wait_dscnt 0x2
	global_store_b128 v[16:17], v[0:3], off
	s_wait_dscnt 0x1
	global_store_b128 v[13:14], v[4:7], off
	scratch_load_b32 v16, off, off offset:20 th:TH_LOAD_LU ; 4-byte Folded Reload
	v_lshlrev_b64_e32 v[4:5], 4, v[18:19]
	s_wait_loadcnt 0x1
	v_mad_co_u64_u32 v[21:22], null, s4, v23, 0
	v_mov_b32_e32 v13, v20
	ds_load_b128 v[0:3], v25 offset:1280
	v_add_co_u32 v4, vcc_lo, v26, v4
	s_wait_alu 0xfffd
	v_add_co_ci_u32_e32 v5, vcc_lo, v27, v5, vcc_lo
	v_mov_b32_e32 v6, v22
	v_lshlrev_b64_e32 v[12:13], 4, v[12:13]
	s_delay_alu instid0(VALU_DEP_2)
	v_mad_co_u64_u32 v[6:7], null, s5, v23, v[6:7]
	s_wait_dscnt 0x1
	global_store_b128 v[4:5], v[8:11], off
	scratch_load_b32 v11, off, off offset:16 th:TH_LOAD_LU ; 4-byte Folded Reload
	v_add_co_u32 v7, vcc_lo, v26, v12
	s_wait_alu 0xfffd
	v_add_co_ci_u32_e32 v8, vcc_lo, v27, v13, vcc_lo
	v_mov_b32_e32 v22, v6
	s_wait_dscnt 0x0
	global_store_b128 v[7:8], v[0:3], off
	ds_load_b128 v[0:3], v25 offset:1536
	v_lshlrev_b64_e32 v[8:9], 4, v[21:22]
	s_wait_loadcnt 0x1
	v_mad_co_u64_u32 v[14:15], null, s4, v16, 0
	s_delay_alu instid0(VALU_DEP_1) | instskip(NEXT) | instid1(VALU_DEP_1)
	v_mov_b32_e32 v4, v15
	v_mad_co_u64_u32 v[4:5], null, s5, v16, v[4:5]
	s_delay_alu instid0(VALU_DEP_4) | instskip(SKIP_4) | instid1(VALU_DEP_4)
	v_add_co_u32 v16, vcc_lo, v26, v8
	s_wait_alu 0xfffd
	v_add_co_ci_u32_e32 v17, vcc_lo, v27, v9, vcc_lo
	s_wait_loadcnt 0x0
	v_mad_co_u64_u32 v[12:13], null, s4, v11, 0
	v_mov_b32_e32 v15, v4
	ds_load_b128 v[4:7], v25 offset:1792
	s_wait_dscnt 0x1
	global_store_b128 v[16:17], v[0:3], off
	v_mov_b32_e32 v10, v13
	v_lshlrev_b64_e32 v[13:14], 4, v[14:15]
	scratch_load_b32 v15, off, off offset:12 th:TH_LOAD_LU ; 4-byte Folded Reload
	v_mad_co_u64_u32 v[18:19], null, s5, v11, v[10:11]
	ds_load_b128 v[8:11], v25 offset:2048
	v_add_co_u32 v21, vcc_lo, v26, v13
	s_wait_alu 0xfffd
	v_add_co_ci_u32_e32 v22, vcc_lo, v27, v14, vcc_lo
	v_mov_b32_e32 v13, v18
	scratch_load_b32 v18, off, off offset:4 th:TH_LOAD_LU ; 4-byte Folded Reload
	s_wait_dscnt 0x1
	global_store_b128 v[21:22], v[4:7], off
	scratch_load_b32 v21, off, off offset:8 th:TH_LOAD_LU ; 4-byte Folded Reload
	v_lshlrev_b64_e32 v[1:2], 4, v[12:13]
	s_delay_alu instid0(VALU_DEP_1) | instskip(SKIP_1) | instid1(VALU_DEP_2)
	v_add_co_u32 v12, vcc_lo, v26, v1
	s_wait_alu 0xfffd
	v_add_co_ci_u32_e32 v13, vcc_lo, v27, v2, vcc_lo
	s_wait_loadcnt 0x2
	v_mad_co_u64_u32 v[19:20], null, s4, v15, 0
	s_delay_alu instid0(VALU_DEP_1) | instskip(NEXT) | instid1(VALU_DEP_1)
	v_mov_b32_e32 v0, v20
	v_mad_co_u64_u32 v[4:5], null, s5, v15, v[0:1]
	ds_load_b128 v[0:3], v25 offset:2304
	s_wait_dscnt 0x1
	global_store_b128 v[12:13], v[8:11], off
	scratch_load_b32 v12, off, off th:TH_LOAD_LU ; 4-byte Folded Reload
	s_wait_loadcnt 0x2
	v_mad_co_u64_u32 v[5:6], null, s4, v18, 0
	s_wait_loadcnt 0x1
	v_mad_co_u64_u32 v[14:15], null, s4, v21, 0
	v_mov_b32_e32 v20, v4
	s_delay_alu instid0(VALU_DEP_3) | instskip(NEXT) | instid1(VALU_DEP_2)
	v_mov_b32_e32 v4, v6
	v_lshlrev_b64_e32 v[7:8], 4, v[19:20]
	s_delay_alu instid0(VALU_DEP_4) | instskip(NEXT) | instid1(VALU_DEP_3)
	v_mov_b32_e32 v6, v15
	v_mad_co_u64_u32 v[9:10], null, s5, v18, v[4:5]
	s_delay_alu instid0(VALU_DEP_2) | instskip(SKIP_3) | instid1(VALU_DEP_3)
	v_mad_co_u64_u32 v[10:11], null, s5, v21, v[6:7]
	v_add_co_u32 v18, vcc_lo, v26, v7
	s_wait_alu 0xfffd
	v_add_co_ci_u32_e32 v19, vcc_lo, v27, v8, vcc_lo
	v_dual_mov_b32 v6, v9 :: v_dual_mov_b32 v15, v10
	s_delay_alu instid0(VALU_DEP_1) | instskip(SKIP_2) | instid1(VALU_DEP_1)
	v_lshlrev_b64_e32 v[23:24], 4, v[14:15]
	s_wait_loadcnt 0x0
	v_mad_co_u64_u32 v[16:17], null, s4, v12, 0
	v_mov_b32_e32 v4, v17
	s_delay_alu instid0(VALU_DEP_1)
	v_mad_co_u64_u32 v[20:21], null, s5, v12, v[4:5]
	v_lshlrev_b64_e32 v[21:22], 4, v[5:6]
	ds_load_b128 v[4:7], v25 offset:2560
	ds_load_b128 v[8:11], v25 offset:2816
	;; [unrolled: 1-line block ×3, first 2 shown]
	v_mov_b32_e32 v17, v20
	v_add_co_u32 v20, vcc_lo, v26, v21
	s_wait_alu 0xfffd
	v_add_co_ci_u32_e32 v21, vcc_lo, v27, v22, vcc_lo
	s_delay_alu instid0(VALU_DEP_3) | instskip(SKIP_3) | instid1(VALU_DEP_3)
	v_lshlrev_b64_e32 v[16:17], 4, v[16:17]
	v_add_co_u32 v22, vcc_lo, v26, v23
	s_wait_alu 0xfffd
	v_add_co_ci_u32_e32 v23, vcc_lo, v27, v24, vcc_lo
	v_add_co_u32 v16, vcc_lo, v26, v16
	s_wait_alu 0xfffd
	v_add_co_ci_u32_e32 v17, vcc_lo, v27, v17, vcc_lo
	s_wait_dscnt 0x3
	global_store_b128 v[18:19], v[0:3], off
	s_wait_dscnt 0x2
	global_store_b128 v[20:21], v[4:7], off
	;; [unrolled: 2-line block ×4, first 2 shown]
.LBB0_20:
	s_nop 0
	s_sendmsg sendmsg(MSG_DEALLOC_VGPRS)
	s_endpgm
	.section	.rodata,"a",@progbits
	.p2align	6, 0x0
	.amdhsa_kernel fft_rtc_back_len208_factors_13_16_wgs_144_tpt_16_dp_op_CI_CI_sbcc_twdbase8_2step
		.amdhsa_group_segment_fixed_size 0
		.amdhsa_private_segment_fixed_size 44
		.amdhsa_kernarg_size 112
		.amdhsa_user_sgpr_count 2
		.amdhsa_user_sgpr_dispatch_ptr 0
		.amdhsa_user_sgpr_queue_ptr 0
		.amdhsa_user_sgpr_kernarg_segment_ptr 1
		.amdhsa_user_sgpr_dispatch_id 0
		.amdhsa_user_sgpr_private_segment_size 0
		.amdhsa_wavefront_size32 1
		.amdhsa_uses_dynamic_stack 0
		.amdhsa_enable_private_segment 1
		.amdhsa_system_sgpr_workgroup_id_x 1
		.amdhsa_system_sgpr_workgroup_id_y 0
		.amdhsa_system_sgpr_workgroup_id_z 0
		.amdhsa_system_sgpr_workgroup_info 0
		.amdhsa_system_vgpr_workitem_id 0
		.amdhsa_next_free_vgpr 256
		.amdhsa_next_free_sgpr 61
		.amdhsa_reserve_vcc 1
		.amdhsa_float_round_mode_32 0
		.amdhsa_float_round_mode_16_64 0
		.amdhsa_float_denorm_mode_32 3
		.amdhsa_float_denorm_mode_16_64 3
		.amdhsa_fp16_overflow 0
		.amdhsa_workgroup_processor_mode 1
		.amdhsa_memory_ordered 1
		.amdhsa_forward_progress 0
		.amdhsa_round_robin_scheduling 0
		.amdhsa_exception_fp_ieee_invalid_op 0
		.amdhsa_exception_fp_denorm_src 0
		.amdhsa_exception_fp_ieee_div_zero 0
		.amdhsa_exception_fp_ieee_overflow 0
		.amdhsa_exception_fp_ieee_underflow 0
		.amdhsa_exception_fp_ieee_inexact 0
		.amdhsa_exception_int_div_zero 0
	.end_amdhsa_kernel
	.text
.Lfunc_end0:
	.size	fft_rtc_back_len208_factors_13_16_wgs_144_tpt_16_dp_op_CI_CI_sbcc_twdbase8_2step, .Lfunc_end0-fft_rtc_back_len208_factors_13_16_wgs_144_tpt_16_dp_op_CI_CI_sbcc_twdbase8_2step
                                        ; -- End function
	.section	.AMDGPU.csdata,"",@progbits
; Kernel info:
; codeLenInByte = 11636
; NumSgprs: 63
; NumVgprs: 256
; ScratchSize: 44
; MemoryBound: 0
; FloatMode: 240
; IeeeMode: 1
; LDSByteSize: 0 bytes/workgroup (compile time only)
; SGPRBlocks: 7
; VGPRBlocks: 31
; NumSGPRsForWavesPerEU: 63
; NumVGPRsForWavesPerEU: 256
; Occupancy: 5
; WaveLimiterHint : 1
; COMPUTE_PGM_RSRC2:SCRATCH_EN: 1
; COMPUTE_PGM_RSRC2:USER_SGPR: 2
; COMPUTE_PGM_RSRC2:TRAP_HANDLER: 0
; COMPUTE_PGM_RSRC2:TGID_X_EN: 1
; COMPUTE_PGM_RSRC2:TGID_Y_EN: 0
; COMPUTE_PGM_RSRC2:TGID_Z_EN: 0
; COMPUTE_PGM_RSRC2:TIDIG_COMP_CNT: 0
	.text
	.p2alignl 7, 3214868480
	.fill 96, 4, 3214868480
	.type	__hip_cuid_c542e1fb8649b86b,@object ; @__hip_cuid_c542e1fb8649b86b
	.section	.bss,"aw",@nobits
	.globl	__hip_cuid_c542e1fb8649b86b
__hip_cuid_c542e1fb8649b86b:
	.byte	0                               ; 0x0
	.size	__hip_cuid_c542e1fb8649b86b, 1

	.ident	"AMD clang version 19.0.0git (https://github.com/RadeonOpenCompute/llvm-project roc-6.4.0 25133 c7fe45cf4b819c5991fe208aaa96edf142730f1d)"
	.section	".note.GNU-stack","",@progbits
	.addrsig
	.addrsig_sym __hip_cuid_c542e1fb8649b86b
	.amdgpu_metadata
---
amdhsa.kernels:
  - .args:
      - .actual_access:  read_only
        .address_space:  global
        .offset:         0
        .size:           8
        .value_kind:     global_buffer
      - .address_space:  global
        .offset:         8
        .size:           8
        .value_kind:     global_buffer
      - .offset:         16
        .size:           8
        .value_kind:     by_value
      - .actual_access:  read_only
        .address_space:  global
        .offset:         24
        .size:           8
        .value_kind:     global_buffer
      - .actual_access:  read_only
        .address_space:  global
        .offset:         32
        .size:           8
        .value_kind:     global_buffer
      - .actual_access:  read_only
        .address_space:  global
        .offset:         40
        .size:           8
        .value_kind:     global_buffer
      - .offset:         48
        .size:           8
        .value_kind:     by_value
      - .actual_access:  read_only
        .address_space:  global
        .offset:         56
        .size:           8
        .value_kind:     global_buffer
      - .actual_access:  read_only
        .address_space:  global
        .offset:         64
        .size:           8
        .value_kind:     global_buffer
      - .offset:         72
        .size:           4
        .value_kind:     by_value
      - .actual_access:  read_only
        .address_space:  global
        .offset:         80
        .size:           8
        .value_kind:     global_buffer
      - .actual_access:  read_only
        .address_space:  global
        .offset:         88
        .size:           8
        .value_kind:     global_buffer
      - .actual_access:  read_only
        .address_space:  global
        .offset:         96
        .size:           8
        .value_kind:     global_buffer
      - .actual_access:  write_only
        .address_space:  global
        .offset:         104
        .size:           8
        .value_kind:     global_buffer
    .group_segment_fixed_size: 0
    .kernarg_segment_align: 8
    .kernarg_segment_size: 112
    .language:       OpenCL C
    .language_version:
      - 2
      - 0
    .max_flat_workgroup_size: 144
    .name:           fft_rtc_back_len208_factors_13_16_wgs_144_tpt_16_dp_op_CI_CI_sbcc_twdbase8_2step
    .private_segment_fixed_size: 44
    .sgpr_count:     63
    .sgpr_spill_count: 0
    .symbol:         fft_rtc_back_len208_factors_13_16_wgs_144_tpt_16_dp_op_CI_CI_sbcc_twdbase8_2step.kd
    .uniform_work_group_size: 1
    .uses_dynamic_stack: false
    .vgpr_count:     256
    .vgpr_spill_count: 10
    .wavefront_size: 32
    .workgroup_processor_mode: 1
amdhsa.target:   amdgcn-amd-amdhsa--gfx1201
amdhsa.version:
  - 1
  - 2
...

	.end_amdgpu_metadata
